;; amdgpu-corpus repo=pytorch/pytorch kind=compiled arch=gfx906 opt=O3
	.amdgcn_target "amdgcn-amd-amdhsa--gfx906"
	.amdhsa_code_object_version 6
	.section	.text._ZN2at6native12_GLOBAL__N_125multi_tensor_apply_kernelINS1_18TensorListMetadataILi3EEENS1_19FusedSgdMathFunctorIdLi3EEEJddPfddbbbS7_S7_EEEvT_T0_DpT1_,"axG",@progbits,_ZN2at6native12_GLOBAL__N_125multi_tensor_apply_kernelINS1_18TensorListMetadataILi3EEENS1_19FusedSgdMathFunctorIdLi3EEEJddPfddbbbS7_S7_EEEvT_T0_DpT1_,comdat
	.globl	_ZN2at6native12_GLOBAL__N_125multi_tensor_apply_kernelINS1_18TensorListMetadataILi3EEENS1_19FusedSgdMathFunctorIdLi3EEEJddPfddbbbS7_S7_EEEvT_T0_DpT1_ ; -- Begin function _ZN2at6native12_GLOBAL__N_125multi_tensor_apply_kernelINS1_18TensorListMetadataILi3EEENS1_19FusedSgdMathFunctorIdLi3EEEJddPfddbbbS7_S7_EEEvT_T0_DpT1_
	.p2align	8
	.type	_ZN2at6native12_GLOBAL__N_125multi_tensor_apply_kernelINS1_18TensorListMetadataILi3EEENS1_19FusedSgdMathFunctorIdLi3EEEJddPfddbbbS7_S7_EEEvT_T0_DpT1_,@function
_ZN2at6native12_GLOBAL__N_125multi_tensor_apply_kernelINS1_18TensorListMetadataILi3EEENS1_19FusedSgdMathFunctorIdLi3EEEJddPfddbbbS7_S7_EEEvT_T0_DpT1_: ; @_ZN2at6native12_GLOBAL__N_125multi_tensor_apply_kernelINS1_18TensorListMetadataILi3EEENS1_19FusedSgdMathFunctorIdLi3EEEJddPfddbbbS7_S7_EEEvT_T0_DpT1_
; %bb.0:
	s_load_dwordx4 s[28:31], s[4:5], 0xc80
	s_waitcnt lgkmcnt(0)
	s_cmp_eq_u64 s[30:31], 0
	s_cselect_b64 s[0:1], -1, 0
	s_and_b64 vcc, exec, s[0:1]
	s_cbranch_vccnz .LBB0_2
; %bb.1:
	s_load_dword s0, s[30:31], 0x0
	s_waitcnt lgkmcnt(0)
	v_cmp_neq_f32_e64 s[0:1], s0, 1.0
.LBB0_2:
	s_andn2_b64 vcc, exec, s[0:1]
	s_cbranch_vccnz .LBB0_74
; %bb.3:
	v_mov_b32_e32 v1, s6
	global_load_ubyte v1, v1, s[4:5] offset:1536
	s_add_u32 s0, s4, s6
	s_load_dwordx8 s[20:27], s[4:5], 0xc50
	s_mul_hi_u32 s1, s6, 3
	s_mul_i32 s6, s6, 3
	s_addc_u32 s2, s5, 0
	s_add_u32 s0, s0, s6
	s_addc_u32 s1, s2, s1
	s_load_dwordx2 s[30:31], s[4:5], 0xc70
	s_load_dword s16, s[0:1], 0x740
	s_waitcnt lgkmcnt(0)
	v_mov_b32_e32 v24, s26
	s_mov_b32 s9, 0
	s_cmp_eq_u64 s[24:25], 0
	v_mov_b32_e32 v25, s27
	s_waitcnt vmcnt(0)
	v_readfirstlane_b32 s8, v1
	s_cbranch_scc1 .LBB0_5
; %bb.4:
	s_load_dword s0, s[24:25], 0x0
	s_waitcnt lgkmcnt(0)
	v_cvt_f64_f32_e32 v[24:25], s0
.LBB0_5:
	s_load_dword s6, s[4:5], 0xc78
	s_mov_b32 s35, s9
	s_waitcnt lgkmcnt(0)
	s_bitcmp1_b32 s6, 0
	s_cselect_b64 s[0:1], -1, 0
	s_bitcmp1_b32 s6, 8
	s_cselect_b64 s[2:3], -1, 0
	;; [unrolled: 2-line block ×3, first 2 shown]
	s_and_b32 s8, s8, 0xff
	s_lshl_b32 s8, s8, 3
	s_load_dwordx2 s[18:19], s[4:5], s8 offset:0x480
	s_ashr_i32 s17, s16, 31
	s_lshl_b64 s[24:25], s[16:17], 16
	s_load_dwordx2 s[10:11], s[4:5], s8 offset:0x0
	s_load_dwordx2 s[12:13], s[4:5], s8 offset:0x180
	;; [unrolled: 1-line block ×3, first 2 shown]
	s_waitcnt lgkmcnt(0)
	s_sub_u32 s24, s18, s24
	s_subb_u32 s25, s19, s25
	s_lshl_b64 s[26:27], s[16:17], 19
	s_add_u32 s33, s10, s26
	s_addc_u32 s44, s11, s27
	s_and_b32 s8, s33, 31
	s_add_u32 s42, s12, s26
	s_addc_u32 s45, s13, s27
	s_and_b32 s16, s42, 31
	;; [unrolled: 3-line block ×3, first 2 shown]
	s_and_b32 s18, s18, 3
	s_mov_b32 s19, s9
	s_mov_b32 s17, s9
	s_or_b64 s[18:19], s[18:19], s[34:35]
	s_or_b64 s[16:17], s[18:19], s[16:17]
	;; [unrolled: 1-line block ×3, first 2 shown]
	s_cmp_eq_u64 s[8:9], 0
	s_mov_b64 s[8:9], -1
	s_cbranch_scc1 .LBB0_60
; %bb.6:
	v_cmp_lt_i64_e64 s[8:9], s[24:25], 1
	s_and_b64 vcc, exec, s[8:9]
	s_cbranch_vccnz .LBB0_59
; %bb.7:
	v_mov_b32_e32 v1, 0x10000
	s_load_dword s16, s[4:5], 0xc9c
	v_mov_b32_e32 v2, 0
	v_cmp_lt_i64_e32 vcc, s[24:25], v[1:2]
	v_mov_b32_e32 v2, 0
	s_and_b64 s[8:9], vcc, exec
	s_cselect_b32 s35, s25, 0
	s_cselect_b32 s34, s24, 0x10000
	s_waitcnt lgkmcnt(0)
	s_and_b32 s16, s16, 0xffff
	v_lshlrev_b32_e32 v1, 3, v0
	v_mad_u64_u32 v[2:3], s[8:9], s16, 24, v[1:2]
	v_mov_b32_e32 v7, s11
	s_lshl_b32 s18, s16, 1
	v_add_co_u32_e32 v23, vcc, s10, v2
	v_addc_co_u32_e32 v32, vcc, v7, v3, vcc
	v_mov_b32_e32 v7, s13
	v_add_co_u32_e32 v33, vcc, s12, v2
	v_addc_co_u32_e32 v34, vcc, v7, v3, vcc
	s_cmp_lg_u64 s[28:29], 0
	v_mov_b32_e32 v7, s15
	v_add_co_u32_e32 v35, vcc, s14, v2
	s_cselect_b64 s[36:37], -1, 0
	v_addc_co_u32_e32 v36, vcc, v7, v3, vcc
	s_lshl_b32 s8, s16, 4
	v_add_co_u32_e32 v2, vcc, s8, v1
	v_addc_co_u32_e64 v3, s[8:9], 0, 0, vcc
	v_mov_b32_e32 v7, s11
	v_add_co_u32_e32 v37, vcc, s10, v2
	v_addc_co_u32_e32 v38, vcc, v7, v3, vcc
	v_mov_b32_e32 v7, s13
	v_add_co_u32_e32 v39, vcc, s12, v2
	v_addc_co_u32_e32 v40, vcc, v7, v3, vcc
	;; [unrolled: 3-line block ×6, first 2 shown]
	v_add_co_u32_e32 v49, vcc, s16, v0
	v_lshlrev_b32_e32 v1, 3, v49
	s_mul_i32 s19, s16, 3
	s_lshl_b32 s47, s16, 2
	s_lshl_b32 s48, s16, 5
	v_addc_co_u32_e64 v50, s[16:17], 0, 0, vcc
	v_mov_b32_e32 v2, s11
	v_add_co_u32_e32 v51, vcc, s10, v1
	v_addc_co_u32_e32 v52, vcc, 0, v2, vcc
	v_mov_b32_e32 v2, s13
	v_add_co_u32_e32 v53, vcc, s12, v1
	v_addc_co_u32_e32 v54, vcc, 0, v2, vcc
	v_mov_b32_e32 v2, s15
	v_add_co_u32_e32 v55, vcc, s14, v1
	v_cmp_neq_f64_e64 s[8:9], s[20:21], 0
	v_addc_co_u32_e32 v56, vcc, 0, v2, vcc
	v_add_f64 v[1:2], -s[30:31], 1.0
	v_add_co_u32_e32 v57, vcc, s19, v0
	v_addc_co_u32_e64 v58, s[10:11], 0, 0, vcc
	v_add_co_u32_e32 v59, vcc, s18, v0
	s_mov_b64 s[38:39], 0
	v_addc_co_u32_e64 v60, s[10:11], 0, 0, vcc
	s_branch .LBB0_9
.LBB0_8:                                ;   in Loop: Header=BB0_9 Depth=1
	s_or_b64 exec, exec, s[10:11]
	v_add_co_u32_e32 v43, vcc, s48, v43
	v_addc_co_u32_e32 v44, vcc, 0, v44, vcc
	v_add_co_u32_e32 v45, vcc, s48, v45
	v_addc_co_u32_e32 v46, vcc, 0, v46, vcc
	;; [unrolled: 2-line block ×10, first 2 shown]
	s_add_u32 s38, s38, s47
	v_add_co_u32_e32 v53, vcc, s48, v53
	v_mov_b32_e32 v3, s34
	s_addc_u32 s39, s39, 0
	v_addc_co_u32_e32 v54, vcc, 0, v54, vcc
	v_mov_b32_e32 v4, s35
	v_cmp_lt_i64_e32 vcc, s[38:39], v[3:4]
	v_add_co_u32_e64 v55, s[10:11], s48, v55
	v_addc_co_u32_e64 v56, s[10:11], 0, v56, s[10:11]
	s_cbranch_vccz .LBB0_59
.LBB0_9:                                ; =>This Inner Loop Header: Depth=1
	v_mov_b32_e32 v4, s39
	v_add_co_u32_e32 v3, vcc, s38, v0
	v_addc_co_u32_e32 v4, vcc, 0, v4, vcc
	v_cmp_gt_i64_e64 s[10:11], s[34:35], v[3:4]
	v_mov_b32_e32 v13, 0
	v_mov_b32_e32 v3, 0
	v_mov_b32_e32 v11, 0
	v_mov_b32_e32 v14, 0
	v_mov_b32_e32 v4, 0
	v_mov_b32_e32 v12, 0
	s_and_saveexec_b64 s[12:13], s[10:11]
	s_cbranch_execz .LBB0_11
; %bb.10:                               ;   in Loop: Header=BB0_9 Depth=1
	v_mov_b32_e32 v3, s27
	v_add_co_u32_e32 v5, vcc, s26, v45
	v_addc_co_u32_e32 v6, vcc, v46, v3, vcc
	v_add_co_u32_e32 v7, vcc, s26, v43
	v_addc_co_u32_e32 v8, vcc, v44, v3, vcc
	global_load_dwordx2 v[11:12], v[7:8], off
	global_load_dwordx2 v[3:4], v[5:6], off
.LBB0_11:                               ;   in Loop: Header=BB0_9 Depth=1
	s_or_b64 exec, exec, s[12:13]
	s_and_saveexec_b64 s[12:13], s[10:11]
	s_cbranch_execz .LBB0_13
; %bb.12:                               ;   in Loop: Header=BB0_9 Depth=1
	v_mov_b32_e32 v6, s27
	v_add_co_u32_e32 v5, vcc, s26, v47
	v_addc_co_u32_e32 v6, vcc, v48, v6, vcc
	global_load_dwordx2 v[13:14], v[5:6], off
.LBB0_13:                               ;   in Loop: Header=BB0_9 Depth=1
	s_or_b64 exec, exec, s[12:13]
	v_mov_b32_e32 v6, s39
	v_add_co_u32_e32 v5, vcc, s38, v49
	v_addc_co_u32_e32 v6, vcc, v50, v6, vcc
	v_cmp_gt_i64_e64 s[12:13], s[34:35], v[5:6]
	v_mov_b32_e32 v17, 0
	v_mov_b32_e32 v5, 0
	v_mov_b32_e32 v15, 0
	v_mov_b32_e32 v18, 0
	v_mov_b32_e32 v6, 0
	v_mov_b32_e32 v16, 0
	s_and_saveexec_b64 s[14:15], s[12:13]
	s_cbranch_execz .LBB0_15
; %bb.14:                               ;   in Loop: Header=BB0_9 Depth=1
	v_mov_b32_e32 v5, s27
	v_add_co_u32_e32 v7, vcc, s26, v53
	v_addc_co_u32_e32 v8, vcc, v54, v5, vcc
	v_add_co_u32_e32 v9, vcc, s26, v51
	v_addc_co_u32_e32 v10, vcc, v52, v5, vcc
	global_load_dwordx2 v[15:16], v[9:10], off
	global_load_dwordx2 v[5:6], v[7:8], off
.LBB0_15:                               ;   in Loop: Header=BB0_9 Depth=1
	s_or_b64 exec, exec, s[14:15]
	s_and_saveexec_b64 s[14:15], s[12:13]
	s_cbranch_execz .LBB0_17
; %bb.16:                               ;   in Loop: Header=BB0_9 Depth=1
	v_mov_b32_e32 v8, s27
	v_add_co_u32_e32 v7, vcc, s26, v55
	v_addc_co_u32_e32 v8, vcc, v56, v8, vcc
	global_load_dwordx2 v[17:18], v[7:8], off
.LBB0_17:                               ;   in Loop: Header=BB0_9 Depth=1
	s_or_b64 exec, exec, s[14:15]
	;; [unrolled: 31-line block ×4, first 2 shown]
	v_cndmask_b32_e64 v30, 0, 1, s[36:37]
	v_cmp_ne_u32_e64 s[18:19], 1, v30
	s_andn2_b64 vcc, exec, s[36:37]
	s_cbranch_vccnz .LBB0_27
; %bb.26:                               ;   in Loop: Header=BB0_9 Depth=1
	s_load_dword s40, s[28:29], 0x0
	s_waitcnt lgkmcnt(0)
	v_cvt_f64_f32_e32 v[30:31], s40
	s_waitcnt vmcnt(0)
	v_div_scale_f64 v[61:62], s[40:41], v[30:31], v[30:31], v[3:4]
	v_div_scale_f64 v[67:68], vcc, v[3:4], v[30:31], v[3:4]
	v_rcp_f64_e32 v[63:64], v[61:62]
	v_fma_f64 v[65:66], -v[61:62], v[63:64], 1.0
	v_fma_f64 v[63:64], v[63:64], v[65:66], v[63:64]
	v_fma_f64 v[65:66], -v[61:62], v[63:64], 1.0
	v_fma_f64 v[63:64], v[63:64], v[65:66], v[63:64]
	v_mul_f64 v[65:66], v[67:68], v[63:64]
	v_fma_f64 v[61:62], -v[61:62], v[65:66], v[67:68]
	v_div_fmas_f64 v[61:62], v[61:62], v[63:64], v[65:66]
	v_div_fixup_f64 v[3:4], v[61:62], v[30:31], v[3:4]
.LBB0_27:                               ;   in Loop: Header=BB0_9 Depth=1
	s_and_b64 vcc, exec, s[18:19]
	s_cbranch_vccnz .LBB0_29
; %bb.28:                               ;   in Loop: Header=BB0_9 Depth=1
	s_load_dword s40, s[28:29], 0x0
	s_waitcnt lgkmcnt(0)
	v_cvt_f64_f32_e32 v[30:31], s40
	s_waitcnt vmcnt(0)
	v_div_scale_f64 v[61:62], s[40:41], v[30:31], v[30:31], v[5:6]
	v_div_scale_f64 v[67:68], vcc, v[5:6], v[30:31], v[5:6]
	v_rcp_f64_e32 v[63:64], v[61:62]
	v_fma_f64 v[65:66], -v[61:62], v[63:64], 1.0
	v_fma_f64 v[63:64], v[63:64], v[65:66], v[63:64]
	v_fma_f64 v[65:66], -v[61:62], v[63:64], 1.0
	v_fma_f64 v[63:64], v[63:64], v[65:66], v[63:64]
	v_mul_f64 v[65:66], v[67:68], v[63:64]
	v_fma_f64 v[61:62], -v[61:62], v[65:66], v[67:68]
	v_div_fmas_f64 v[61:62], v[61:62], v[63:64], v[65:66]
	v_div_fixup_f64 v[5:6], v[61:62], v[30:31], v[5:6]
.LBB0_29:                               ;   in Loop: Header=BB0_9 Depth=1
	s_and_b64 vcc, exec, s[18:19]
	;; [unrolled: 19-line block ×3, first 2 shown]
	s_cbranch_vccnz .LBB0_33
; %bb.32:                               ;   in Loop: Header=BB0_9 Depth=1
	s_load_dword s40, s[28:29], 0x0
	s_waitcnt lgkmcnt(0)
	v_cvt_f64_f32_e32 v[30:31], s40
	s_waitcnt vmcnt(0)
	v_div_scale_f64 v[61:62], s[40:41], v[30:31], v[30:31], v[9:10]
	v_div_scale_f64 v[67:68], vcc, v[9:10], v[30:31], v[9:10]
	v_rcp_f64_e32 v[63:64], v[61:62]
	v_fma_f64 v[65:66], -v[61:62], v[63:64], 1.0
	v_fma_f64 v[63:64], v[63:64], v[65:66], v[63:64]
	v_fma_f64 v[65:66], -v[61:62], v[63:64], 1.0
	v_fma_f64 v[63:64], v[63:64], v[65:66], v[63:64]
	v_mul_f64 v[65:66], v[67:68], v[63:64]
	v_fma_f64 v[61:62], -v[61:62], v[65:66], v[67:68]
	v_div_fmas_f64 v[61:62], v[61:62], v[63:64], v[65:66]
	v_div_fixup_f64 v[9:10], v[61:62], v[30:31], v[9:10]
.LBB0_33:                               ;   in Loop: Header=BB0_9 Depth=1
	s_waitcnt vmcnt(0)
	v_xor_b32_e32 v30, 0x80000000, v4
	v_cndmask_b32_e64 v31, v4, v30, s[2:3]
	v_mov_b32_e32 v30, v3
	v_fma_f64 v[61:62], s[20:21], v[11:12], v[30:31]
	v_cndmask_b32_e64 v31, v31, v62, s[8:9]
	v_cndmask_b32_e64 v30, v3, v61, s[8:9]
	v_mul_f64 v[61:62], v[1:2], v[30:31]
	v_fma_f64 v[13:14], s[22:23], v[13:14], v[61:62]
	v_cndmask_b32_e64 v14, v14, v31, s[6:7]
	v_cndmask_b32_e64 v13, v13, v30, s[6:7]
	s_and_saveexec_b64 s[40:41], s[10:11]
	s_cbranch_execz .LBB0_35
; %bb.34:                               ;   in Loop: Header=BB0_9 Depth=1
	v_fma_f64 v[30:31], s[22:23], v[13:14], v[30:31]
	v_cndmask_b32_e64 v31, v14, v31, s[0:1]
	v_cndmask_b32_e64 v30, v13, v30, s[0:1]
	v_fma_f64 v[11:12], -v[24:25], v[30:31], v[11:12]
	v_mov_b32_e32 v31, s27
	v_add_co_u32_e32 v30, vcc, s26, v43
	v_addc_co_u32_e32 v31, vcc, v44, v31, vcc
	global_store_dwordx2 v[30:31], v[11:12], off
.LBB0_35:                               ;   in Loop: Header=BB0_9 Depth=1
	s_or_b64 exec, exec, s[40:41]
	v_xor_b32_e32 v11, 0x80000000, v6
	v_cndmask_b32_e64 v12, v6, v11, s[2:3]
	v_mov_b32_e32 v11, v5
	v_fma_f64 v[30:31], s[20:21], v[15:16], v[11:12]
	v_cndmask_b32_e64 v31, v12, v31, s[8:9]
	v_cndmask_b32_e64 v30, v5, v30, s[8:9]
	v_mul_f64 v[11:12], v[1:2], v[30:31]
	v_fma_f64 v[11:12], s[22:23], v[17:18], v[11:12]
	v_cndmask_b32_e64 v12, v12, v31, s[6:7]
	v_cndmask_b32_e64 v11, v11, v30, s[6:7]
	s_and_saveexec_b64 s[40:41], s[12:13]
	s_cbranch_execz .LBB0_37
; %bb.36:                               ;   in Loop: Header=BB0_9 Depth=1
	v_fma_f64 v[17:18], s[22:23], v[11:12], v[30:31]
	v_cndmask_b32_e64 v18, v12, v18, s[0:1]
	v_cndmask_b32_e64 v17, v11, v17, s[0:1]
	v_fma_f64 v[15:16], -v[24:25], v[17:18], v[15:16]
	v_mov_b32_e32 v18, s27
	v_add_co_u32_e32 v17, vcc, s26, v51
	v_addc_co_u32_e32 v18, vcc, v52, v18, vcc
	global_store_dwordx2 v[17:18], v[15:16], off
.LBB0_37:                               ;   in Loop: Header=BB0_9 Depth=1
	s_or_b64 exec, exec, s[40:41]
	;; [unrolled: 23-line block ×3, first 2 shown]
	v_xor_b32_e32 v17, 0x80000000, v10
	v_cndmask_b32_e64 v18, v10, v17, s[2:3]
	v_mov_b32_e32 v17, v9
	v_fma_f64 v[19:20], s[20:21], v[26:27], v[17:18]
	v_cndmask_b32_e64 v20, v18, v20, s[8:9]
	v_cndmask_b32_e64 v19, v9, v19, s[8:9]
	v_mul_f64 v[17:18], v[1:2], v[19:20]
	v_fma_f64 v[17:18], s[22:23], v[28:29], v[17:18]
	v_cndmask_b32_e64 v18, v18, v20, s[6:7]
	v_cndmask_b32_e64 v17, v17, v19, s[6:7]
	s_and_saveexec_b64 s[40:41], s[16:17]
	s_cbranch_execz .LBB0_41
; %bb.40:                               ;   in Loop: Header=BB0_9 Depth=1
	v_fma_f64 v[19:20], s[22:23], v[17:18], v[19:20]
	v_mov_b32_e32 v22, s27
	v_add_co_u32_e32 v21, vcc, s26, v23
	v_addc_co_u32_e32 v22, vcc, v32, v22, vcc
	v_cndmask_b32_e64 v20, v18, v20, s[0:1]
	v_cndmask_b32_e64 v19, v17, v19, s[0:1]
	v_fma_f64 v[19:20], -v[24:25], v[19:20], v[26:27]
	global_store_dwordx2 v[21:22], v[19:20], off
.LBB0_41:                               ;   in Loop: Header=BB0_9 Depth=1
	s_or_b64 exec, exec, s[40:41]
	s_and_b64 vcc, exec, s[18:19]
	s_cbranch_vccnz .LBB0_48
; %bb.42:                               ;   in Loop: Header=BB0_9 Depth=1
	s_and_saveexec_b64 s[18:19], s[10:11]
	s_cbranch_execnz .LBB0_56
; %bb.43:                               ;   in Loop: Header=BB0_9 Depth=1
	s_or_b64 exec, exec, s[18:19]
	s_and_saveexec_b64 s[18:19], s[12:13]
	s_cbranch_execnz .LBB0_57
.LBB0_44:                               ;   in Loop: Header=BB0_9 Depth=1
	s_or_b64 exec, exec, s[18:19]
	s_and_saveexec_b64 s[18:19], s[14:15]
	s_cbranch_execnz .LBB0_58
.LBB0_45:                               ;   in Loop: Header=BB0_9 Depth=1
	s_or_b64 exec, exec, s[18:19]
	s_and_saveexec_b64 s[18:19], s[16:17]
	s_cbranch_execz .LBB0_47
.LBB0_46:                               ;   in Loop: Header=BB0_9 Depth=1
	v_mov_b32_e32 v4, s27
	v_add_co_u32_e32 v3, vcc, s26, v33
	v_addc_co_u32_e32 v4, vcc, v34, v4, vcc
	global_store_dwordx2 v[3:4], v[9:10], off
.LBB0_47:                               ;   in Loop: Header=BB0_9 Depth=1
	s_or_b64 exec, exec, s[18:19]
.LBB0_48:                               ;   in Loop: Header=BB0_9 Depth=1
	s_and_saveexec_b64 s[18:19], s[10:11]
	s_cbranch_execnz .LBB0_52
; %bb.49:                               ;   in Loop: Header=BB0_9 Depth=1
	s_or_b64 exec, exec, s[18:19]
	s_and_saveexec_b64 s[10:11], s[12:13]
	s_cbranch_execnz .LBB0_53
.LBB0_50:                               ;   in Loop: Header=BB0_9 Depth=1
	s_or_b64 exec, exec, s[10:11]
	s_and_saveexec_b64 s[10:11], s[14:15]
	s_cbranch_execnz .LBB0_54
.LBB0_51:                               ;   in Loop: Header=BB0_9 Depth=1
	s_or_b64 exec, exec, s[10:11]
	s_and_saveexec_b64 s[10:11], s[16:17]
	s_cbranch_execz .LBB0_8
	s_branch .LBB0_55
.LBB0_52:                               ;   in Loop: Header=BB0_9 Depth=1
	v_mov_b32_e32 v4, s27
	v_add_co_u32_e32 v3, vcc, s26, v47
	v_addc_co_u32_e32 v4, vcc, v48, v4, vcc
	global_store_dwordx2 v[3:4], v[13:14], off
	s_or_b64 exec, exec, s[18:19]
	s_and_saveexec_b64 s[10:11], s[12:13]
	s_cbranch_execz .LBB0_50
.LBB0_53:                               ;   in Loop: Header=BB0_9 Depth=1
	v_mov_b32_e32 v4, s27
	v_add_co_u32_e32 v3, vcc, s26, v55
	v_addc_co_u32_e32 v4, vcc, v56, v4, vcc
	global_store_dwordx2 v[3:4], v[11:12], off
	s_or_b64 exec, exec, s[10:11]
	s_and_saveexec_b64 s[10:11], s[14:15]
	s_cbranch_execz .LBB0_51
.LBB0_54:                               ;   in Loop: Header=BB0_9 Depth=1
	v_mov_b32_e32 v4, s27
	v_add_co_u32_e32 v3, vcc, s26, v41
	v_addc_co_u32_e32 v4, vcc, v42, v4, vcc
	global_store_dwordx2 v[3:4], v[15:16], off
	s_or_b64 exec, exec, s[10:11]
	s_and_saveexec_b64 s[10:11], s[16:17]
	s_cbranch_execz .LBB0_8
.LBB0_55:                               ;   in Loop: Header=BB0_9 Depth=1
	v_mov_b32_e32 v4, s27
	v_add_co_u32_e32 v3, vcc, s26, v35
	v_addc_co_u32_e32 v4, vcc, v36, v4, vcc
	global_store_dwordx2 v[3:4], v[17:18], off
	s_branch .LBB0_8
.LBB0_56:                               ;   in Loop: Header=BB0_9 Depth=1
	v_mov_b32_e32 v20, s27
	v_add_co_u32_e32 v19, vcc, s26, v45
	v_addc_co_u32_e32 v20, vcc, v46, v20, vcc
	global_store_dwordx2 v[19:20], v[3:4], off
	s_or_b64 exec, exec, s[18:19]
	s_and_saveexec_b64 s[18:19], s[12:13]
	s_cbranch_execz .LBB0_44
.LBB0_57:                               ;   in Loop: Header=BB0_9 Depth=1
	v_mov_b32_e32 v4, s27
	v_add_co_u32_e32 v3, vcc, s26, v53
	v_addc_co_u32_e32 v4, vcc, v54, v4, vcc
	global_store_dwordx2 v[3:4], v[5:6], off
	s_or_b64 exec, exec, s[18:19]
	s_and_saveexec_b64 s[18:19], s[14:15]
	s_cbranch_execz .LBB0_45
.LBB0_58:                               ;   in Loop: Header=BB0_9 Depth=1
	v_mov_b32_e32 v4, s27
	v_add_co_u32_e32 v3, vcc, s26, v39
	v_addc_co_u32_e32 v4, vcc, v40, v4, vcc
	global_store_dwordx2 v[3:4], v[7:8], off
	s_or_b64 exec, exec, s[18:19]
	s_and_saveexec_b64 s[18:19], s[16:17]
	s_cbranch_execnz .LBB0_46
	s_branch .LBB0_47
.LBB0_59:
	s_mov_b64 s[8:9], 0
.LBB0_60:
	s_andn2_b64 vcc, exec, s[8:9]
	s_cbranch_vccnz .LBB0_74
; %bb.61:
	v_mov_b32_e32 v27, 0
	v_lshlrev_b32_e32 v26, 2, v0
	v_cmp_gt_i64_e32 vcc, s[24:25], v[26:27]
	s_and_saveexec_b64 s[8:9], vcc
	s_cbranch_execz .LBB0_74
; %bb.62:
	s_load_dword s10, s[4:5], 0xc9c
	v_cmp_neq_f64_e64 s[4:5], s[20:21], 0
	v_add_f64 v[28:29], -s[30:31], 1.0
	s_cmp_lg_u64 s[28:29], 0
	s_cselect_b64 s[8:9], -1, 0
	s_waitcnt lgkmcnt(0)
	s_and_b32 s14, s10, 0xffff
	v_add_lshl_u32 v26, v0, s14, 2
	v_cndmask_b32_e64 v2, 0, 1, s[8:9]
	v_mov_b32_e32 v31, v27
	v_mov_b32_e32 v1, v27
	s_mov_b64 s[12:13], 0
	v_add_u32_e32 v38, s14, v0
	s_lshl_b32 s15, s14, 2
	v_mov_b32_e32 v39, s44
	v_mov_b32_e32 v40, s45
	;; [unrolled: 1-line block ×3, first 2 shown]
	v_cmp_ne_u32_e64 s[8:9], 1, v2
	s_movk_i32 s16, 0x3fff
	v_mov_b32_e32 v30, v26
	v_mov_b32_e32 v26, v0
	s_branch .LBB0_64
.LBB0_63:                               ;   in Loop: Header=BB0_64 Depth=1
	v_cmp_le_u64_e32 vcc, s[24:25], v[30:31]
	v_cmp_lt_u32_e64 s[10:11], s16, v38
	v_add_u32_e32 v26, s14, v26
	s_or_b64 s[10:11], vcc, s[10:11]
	v_add_co_u32_e32 v30, vcc, s15, v30
	s_and_b64 s[10:11], exec, s[10:11]
	v_mov_b32_e32 v0, v26
	v_add_u32_e32 v38, s14, v38
	v_addc_co_u32_e32 v31, vcc, 0, v31, vcc
	s_or_b64 s[12:13], s[10:11], s[12:13]
	v_mov_b32_e32 v1, v27
	global_store_dwordx4 v[32:33], v[20:23], off
	global_store_dwordx4 v[32:33], v[16:19], off offset:16
	s_andn2_b64 exec, exec, s[12:13]
	s_cbranch_execz .LBB0_74
.LBB0_64:                               ; =>This Inner Loop Header: Depth=1
	v_lshlrev_b64 v[16:17], 5, v[0:1]
	v_add_co_u32_e32 v36, vcc, s33, v16
	v_addc_co_u32_e32 v37, vcc, v39, v17, vcc
	v_add_co_u32_e32 v34, vcc, s42, v16
	v_addc_co_u32_e32 v35, vcc, v40, v17, vcc
	;; [unrolled: 2-line block ×3, first 2 shown]
	global_load_dwordx4 v[8:11], v[36:37], off offset:16
	global_load_dwordx4 v[12:15], v[36:37], off
	global_load_dwordx4 v[0:3], v[34:35], off offset:16
	global_load_dwordx4 v[4:7], v[34:35], off
	;; [unrolled: 2-line block ×3, first 2 shown]
	s_and_b64 vcc, exec, s[8:9]
	s_cbranch_vccnz .LBB0_66
; %bb.65:                               ;   in Loop: Header=BB0_64 Depth=1
	global_load_dword v42, v27, s[28:29]
	s_waitcnt vmcnt(0)
	v_cvt_f64_f32_e32 v[42:43], v42
	v_div_scale_f64 v[44:45], s[10:11], v[42:43], v[42:43], v[4:5]
	v_div_scale_f64 v[50:51], vcc, v[4:5], v[42:43], v[4:5]
	v_rcp_f64_e32 v[46:47], v[44:45]
	v_fma_f64 v[48:49], -v[44:45], v[46:47], 1.0
	v_fma_f64 v[46:47], v[46:47], v[48:49], v[46:47]
	v_fma_f64 v[48:49], -v[44:45], v[46:47], 1.0
	v_fma_f64 v[46:47], v[46:47], v[48:49], v[46:47]
	v_mul_f64 v[48:49], v[50:51], v[46:47]
	v_fma_f64 v[44:45], -v[44:45], v[48:49], v[50:51]
	v_div_fmas_f64 v[44:45], v[44:45], v[46:47], v[48:49]
	v_div_fixup_f64 v[4:5], v[44:45], v[42:43], v[4:5]
.LBB0_66:                               ;   in Loop: Header=BB0_64 Depth=1
	s_and_b64 vcc, exec, s[8:9]
	s_cbranch_vccnz .LBB0_68
; %bb.67:                               ;   in Loop: Header=BB0_64 Depth=1
	global_load_dword v42, v27, s[28:29]
	s_waitcnt vmcnt(0)
	v_cvt_f64_f32_e32 v[42:43], v42
	v_div_scale_f64 v[44:45], s[10:11], v[42:43], v[42:43], v[6:7]
	v_div_scale_f64 v[50:51], vcc, v[6:7], v[42:43], v[6:7]
	v_rcp_f64_e32 v[46:47], v[44:45]
	v_fma_f64 v[48:49], -v[44:45], v[46:47], 1.0
	v_fma_f64 v[46:47], v[46:47], v[48:49], v[46:47]
	v_fma_f64 v[48:49], -v[44:45], v[46:47], 1.0
	v_fma_f64 v[46:47], v[46:47], v[48:49], v[46:47]
	v_mul_f64 v[48:49], v[50:51], v[46:47]
	v_fma_f64 v[44:45], -v[44:45], v[48:49], v[50:51]
	v_div_fmas_f64 v[44:45], v[44:45], v[46:47], v[48:49]
	v_div_fixup_f64 v[6:7], v[44:45], v[42:43], v[6:7]
.LBB0_68:                               ;   in Loop: Header=BB0_64 Depth=1
	;; [unrolled: 18-line block ×4, first 2 shown]
	s_waitcnt vmcnt(3)
	v_xor_b32_e32 v42, 0x80000000, v1
	v_cndmask_b32_e64 v43, v1, v42, s[2:3]
	v_mov_b32_e32 v42, v0
	v_fma_f64 v[44:45], s[20:21], v[8:9], v[42:43]
	s_waitcnt vmcnt(2)
	v_xor_b32_e32 v47, 0x80000000, v7
	v_mov_b32_e32 v42, v6
	v_xor_b32_e32 v52, 0x80000000, v5
	v_mov_b32_e32 v46, v4
	v_mov_b32_e32 v54, v2
	s_and_b64 vcc, exec, s[8:9]
	v_cndmask_b32_e64 v45, v43, v45, s[4:5]
	v_cndmask_b32_e64 v44, v0, v44, s[4:5]
	v_mul_f64 v[48:49], v[28:29], v[44:45]
	v_cndmask_b32_e64 v43, v7, v47, s[2:3]
	v_fma_f64 v[50:51], s[20:21], v[14:15], v[42:43]
	v_cndmask_b32_e64 v47, v5, v52, s[2:3]
	v_xor_b32_e32 v42, 0x80000000, v3
	v_fma_f64 v[52:53], s[20:21], v[12:13], v[46:47]
	v_cndmask_b32_e64 v55, v3, v42, s[2:3]
	s_waitcnt vmcnt(1)
	v_fma_f64 v[16:17], s[22:23], v[16:17], v[48:49]
	v_fma_f64 v[48:49], s[20:21], v[10:11], v[54:55]
	v_cndmask_b32_e64 v43, v43, v51, s[4:5]
	v_cndmask_b32_e64 v42, v6, v50, s[4:5]
	v_mul_f64 v[50:51], v[28:29], v[42:43]
	v_cndmask_b32_e64 v47, v47, v53, s[4:5]
	v_cndmask_b32_e64 v46, v4, v52, s[4:5]
	v_mul_f64 v[52:53], v[28:29], v[46:47]
	v_cndmask_b32_e64 v17, v17, v45, s[6:7]
	v_cndmask_b32_e64 v49, v55, v49, s[4:5]
	;; [unrolled: 1-line block ×3, first 2 shown]
	v_mul_f64 v[54:55], v[28:29], v[48:49]
	s_waitcnt vmcnt(0)
	v_fma_f64 v[22:23], s[22:23], v[22:23], v[50:51]
	v_cndmask_b32_e64 v16, v16, v44, s[6:7]
	v_fma_f64 v[44:45], s[22:23], v[16:17], v[44:45]
	v_fma_f64 v[20:21], s[22:23], v[20:21], v[52:53]
	v_fma_f64 v[18:19], s[22:23], v[18:19], v[54:55]
	v_cndmask_b32_e64 v23, v23, v43, s[6:7]
	v_cndmask_b32_e64 v22, v22, v42, s[6:7]
	v_fma_f64 v[42:43], s[22:23], v[22:23], v[42:43]
	v_cndmask_b32_e64 v21, v21, v47, s[6:7]
	v_cndmask_b32_e64 v20, v20, v46, s[6:7]
	v_fma_f64 v[46:47], s[22:23], v[20:21], v[46:47]
	v_cndmask_b32_e64 v45, v17, v45, s[0:1]
	v_cndmask_b32_e64 v19, v19, v49, s[6:7]
	;; [unrolled: 1-line block ×3, first 2 shown]
	v_fma_f64 v[48:49], s[22:23], v[18:19], v[48:49]
	v_cndmask_b32_e64 v43, v23, v43, s[0:1]
	v_cndmask_b32_e64 v42, v22, v42, s[0:1]
	v_fma_f64 v[14:15], -v[24:25], v[42:43], v[14:15]
	v_cndmask_b32_e64 v43, v21, v47, s[0:1]
	v_cndmask_b32_e64 v42, v20, v46, s[0:1]
	;; [unrolled: 1-line block ×3, first 2 shown]
	v_fma_f64 v[12:13], -v[24:25], v[42:43], v[12:13]
	v_cndmask_b32_e64 v43, v19, v49, s[0:1]
	v_cndmask_b32_e64 v42, v18, v48, s[0:1]
	v_fma_f64 v[8:9], -v[24:25], v[44:45], v[8:9]
	v_fma_f64 v[10:11], -v[24:25], v[42:43], v[10:11]
	global_store_dwordx4 v[36:37], v[12:15], off
	global_store_dwordx4 v[36:37], v[8:11], off offset:16
	s_cbranch_vccnz .LBB0_63
; %bb.73:                               ;   in Loop: Header=BB0_64 Depth=1
	global_store_dwordx4 v[34:35], v[4:7], off
	global_store_dwordx4 v[34:35], v[0:3], off offset:16
	s_branch .LBB0_63
.LBB0_74:
	s_endpgm
	.section	.rodata,"a",@progbits
	.p2align	6, 0x0
	.amdhsa_kernel _ZN2at6native12_GLOBAL__N_125multi_tensor_apply_kernelINS1_18TensorListMetadataILi3EEENS1_19FusedSgdMathFunctorIdLi3EEEJddPfddbbbS7_S7_EEEvT_T0_DpT1_
		.amdhsa_group_segment_fixed_size 0
		.amdhsa_private_segment_fixed_size 0
		.amdhsa_kernarg_size 3472
		.amdhsa_user_sgpr_count 6
		.amdhsa_user_sgpr_private_segment_buffer 1
		.amdhsa_user_sgpr_dispatch_ptr 0
		.amdhsa_user_sgpr_queue_ptr 0
		.amdhsa_user_sgpr_kernarg_segment_ptr 1
		.amdhsa_user_sgpr_dispatch_id 0
		.amdhsa_user_sgpr_flat_scratch_init 0
		.amdhsa_user_sgpr_private_segment_size 0
		.amdhsa_uses_dynamic_stack 0
		.amdhsa_system_sgpr_private_segment_wavefront_offset 0
		.amdhsa_system_sgpr_workgroup_id_x 1
		.amdhsa_system_sgpr_workgroup_id_y 0
		.amdhsa_system_sgpr_workgroup_id_z 0
		.amdhsa_system_sgpr_workgroup_info 0
		.amdhsa_system_vgpr_workitem_id 0
		.amdhsa_next_free_vgpr 69
		.amdhsa_next_free_sgpr 49
		.amdhsa_reserve_vcc 1
		.amdhsa_reserve_flat_scratch 0
		.amdhsa_float_round_mode_32 0
		.amdhsa_float_round_mode_16_64 0
		.amdhsa_float_denorm_mode_32 3
		.amdhsa_float_denorm_mode_16_64 3
		.amdhsa_dx10_clamp 1
		.amdhsa_ieee_mode 1
		.amdhsa_fp16_overflow 0
		.amdhsa_exception_fp_ieee_invalid_op 0
		.amdhsa_exception_fp_denorm_src 0
		.amdhsa_exception_fp_ieee_div_zero 0
		.amdhsa_exception_fp_ieee_overflow 0
		.amdhsa_exception_fp_ieee_underflow 0
		.amdhsa_exception_fp_ieee_inexact 0
		.amdhsa_exception_int_div_zero 0
	.end_amdhsa_kernel
	.section	.text._ZN2at6native12_GLOBAL__N_125multi_tensor_apply_kernelINS1_18TensorListMetadataILi3EEENS1_19FusedSgdMathFunctorIdLi3EEEJddPfddbbbS7_S7_EEEvT_T0_DpT1_,"axG",@progbits,_ZN2at6native12_GLOBAL__N_125multi_tensor_apply_kernelINS1_18TensorListMetadataILi3EEENS1_19FusedSgdMathFunctorIdLi3EEEJddPfddbbbS7_S7_EEEvT_T0_DpT1_,comdat
.Lfunc_end0:
	.size	_ZN2at6native12_GLOBAL__N_125multi_tensor_apply_kernelINS1_18TensorListMetadataILi3EEENS1_19FusedSgdMathFunctorIdLi3EEEJddPfddbbbS7_S7_EEEvT_T0_DpT1_, .Lfunc_end0-_ZN2at6native12_GLOBAL__N_125multi_tensor_apply_kernelINS1_18TensorListMetadataILi3EEENS1_19FusedSgdMathFunctorIdLi3EEEJddPfddbbbS7_S7_EEEvT_T0_DpT1_
                                        ; -- End function
	.set _ZN2at6native12_GLOBAL__N_125multi_tensor_apply_kernelINS1_18TensorListMetadataILi3EEENS1_19FusedSgdMathFunctorIdLi3EEEJddPfddbbbS7_S7_EEEvT_T0_DpT1_.num_vgpr, 69
	.set _ZN2at6native12_GLOBAL__N_125multi_tensor_apply_kernelINS1_18TensorListMetadataILi3EEENS1_19FusedSgdMathFunctorIdLi3EEEJddPfddbbbS7_S7_EEEvT_T0_DpT1_.num_agpr, 0
	.set _ZN2at6native12_GLOBAL__N_125multi_tensor_apply_kernelINS1_18TensorListMetadataILi3EEENS1_19FusedSgdMathFunctorIdLi3EEEJddPfddbbbS7_S7_EEEvT_T0_DpT1_.numbered_sgpr, 49
	.set _ZN2at6native12_GLOBAL__N_125multi_tensor_apply_kernelINS1_18TensorListMetadataILi3EEENS1_19FusedSgdMathFunctorIdLi3EEEJddPfddbbbS7_S7_EEEvT_T0_DpT1_.num_named_barrier, 0
	.set _ZN2at6native12_GLOBAL__N_125multi_tensor_apply_kernelINS1_18TensorListMetadataILi3EEENS1_19FusedSgdMathFunctorIdLi3EEEJddPfddbbbS7_S7_EEEvT_T0_DpT1_.private_seg_size, 0
	.set _ZN2at6native12_GLOBAL__N_125multi_tensor_apply_kernelINS1_18TensorListMetadataILi3EEENS1_19FusedSgdMathFunctorIdLi3EEEJddPfddbbbS7_S7_EEEvT_T0_DpT1_.uses_vcc, 1
	.set _ZN2at6native12_GLOBAL__N_125multi_tensor_apply_kernelINS1_18TensorListMetadataILi3EEENS1_19FusedSgdMathFunctorIdLi3EEEJddPfddbbbS7_S7_EEEvT_T0_DpT1_.uses_flat_scratch, 0
	.set _ZN2at6native12_GLOBAL__N_125multi_tensor_apply_kernelINS1_18TensorListMetadataILi3EEENS1_19FusedSgdMathFunctorIdLi3EEEJddPfddbbbS7_S7_EEEvT_T0_DpT1_.has_dyn_sized_stack, 0
	.set _ZN2at6native12_GLOBAL__N_125multi_tensor_apply_kernelINS1_18TensorListMetadataILi3EEENS1_19FusedSgdMathFunctorIdLi3EEEJddPfddbbbS7_S7_EEEvT_T0_DpT1_.has_recursion, 0
	.set _ZN2at6native12_GLOBAL__N_125multi_tensor_apply_kernelINS1_18TensorListMetadataILi3EEENS1_19FusedSgdMathFunctorIdLi3EEEJddPfddbbbS7_S7_EEEvT_T0_DpT1_.has_indirect_call, 0
	.section	.AMDGPU.csdata,"",@progbits
; Kernel info:
; codeLenInByte = 3904
; TotalNumSgprs: 53
; NumVgprs: 69
; ScratchSize: 0
; MemoryBound: 1
; FloatMode: 240
; IeeeMode: 1
; LDSByteSize: 0 bytes/workgroup (compile time only)
; SGPRBlocks: 6
; VGPRBlocks: 17
; NumSGPRsForWavesPerEU: 53
; NumVGPRsForWavesPerEU: 69
; Occupancy: 3
; WaveLimiterHint : 0
; COMPUTE_PGM_RSRC2:SCRATCH_EN: 0
; COMPUTE_PGM_RSRC2:USER_SGPR: 6
; COMPUTE_PGM_RSRC2:TRAP_HANDLER: 0
; COMPUTE_PGM_RSRC2:TGID_X_EN: 1
; COMPUTE_PGM_RSRC2:TGID_Y_EN: 0
; COMPUTE_PGM_RSRC2:TGID_Z_EN: 0
; COMPUTE_PGM_RSRC2:TIDIG_COMP_CNT: 0
	.section	.text._ZN2at6native12_GLOBAL__N_125multi_tensor_apply_kernelINS1_18TensorListMetadataILi3EEENS1_19FusedSgdMathFunctorIfLi3EEEJddPfddbbbS7_S7_EEEvT_T0_DpT1_,"axG",@progbits,_ZN2at6native12_GLOBAL__N_125multi_tensor_apply_kernelINS1_18TensorListMetadataILi3EEENS1_19FusedSgdMathFunctorIfLi3EEEJddPfddbbbS7_S7_EEEvT_T0_DpT1_,comdat
	.globl	_ZN2at6native12_GLOBAL__N_125multi_tensor_apply_kernelINS1_18TensorListMetadataILi3EEENS1_19FusedSgdMathFunctorIfLi3EEEJddPfddbbbS7_S7_EEEvT_T0_DpT1_ ; -- Begin function _ZN2at6native12_GLOBAL__N_125multi_tensor_apply_kernelINS1_18TensorListMetadataILi3EEENS1_19FusedSgdMathFunctorIfLi3EEEJddPfddbbbS7_S7_EEEvT_T0_DpT1_
	.p2align	8
	.type	_ZN2at6native12_GLOBAL__N_125multi_tensor_apply_kernelINS1_18TensorListMetadataILi3EEENS1_19FusedSgdMathFunctorIfLi3EEEJddPfddbbbS7_S7_EEEvT_T0_DpT1_,@function
_ZN2at6native12_GLOBAL__N_125multi_tensor_apply_kernelINS1_18TensorListMetadataILi3EEENS1_19FusedSgdMathFunctorIfLi3EEEJddPfddbbbS7_S7_EEEvT_T0_DpT1_: ; @_ZN2at6native12_GLOBAL__N_125multi_tensor_apply_kernelINS1_18TensorListMetadataILi3EEENS1_19FusedSgdMathFunctorIfLi3EEEJddPfddbbbS7_S7_EEEvT_T0_DpT1_
; %bb.0:
	s_load_dwordx4 s[20:23], s[4:5], 0xc80
	s_waitcnt lgkmcnt(0)
	s_cmp_eq_u64 s[22:23], 0
	s_cselect_b64 s[0:1], -1, 0
	s_and_b64 vcc, exec, s[0:1]
	s_cbranch_vccnz .LBB1_2
; %bb.1:
	s_load_dword s0, s[22:23], 0x0
	s_waitcnt lgkmcnt(0)
	v_cmp_neq_f32_e64 s[0:1], s0, 1.0
.LBB1_2:
	s_andn2_b64 vcc, exec, s[0:1]
	s_cbranch_vccnz .LBB1_75
; %bb.3:
	v_mov_b32_e32 v1, s6
	global_load_ubyte v1, v1, s[4:5] offset:1536
	s_load_dwordx2 s[16:17], s[4:5], 0xc70
	s_load_dwordx8 s[8:15], s[4:5], 0xc50
	s_add_u32 s0, s4, s6
	s_mul_hi_u32 s1, s6, 3
	s_mul_i32 s6, s6, 3
	s_addc_u32 s2, s5, 0
	s_add_u32 s0, s0, s6
	s_addc_u32 s1, s2, s1
	s_waitcnt lgkmcnt(0)
	s_cmp_eq_u64 s[12:13], 0
	s_mov_b64 s[2:3], 0
	s_waitcnt vmcnt(0)
	v_readfirstlane_b32 s7, v1
	s_cbranch_scc1 .LBB1_76
; %bb.4:
	s_load_dword s12, s[12:13], 0x0
	s_nop 0
	s_load_dword s6, s[0:1], 0x740
	s_andn2_b64 vcc, exec, s[2:3]
	s_waitcnt lgkmcnt(0)
	v_mov_b32_e32 v22, s12
	s_cbranch_vccnz .LBB1_6
.LBB1_5:
	v_cvt_f32_f64_e32 v22, s[14:15]
.LBB1_6:
	s_load_dword s2, s[4:5], 0xc78
	v_cvt_f32_f64_e32 v23, s[8:9]
	v_cvt_f32_f64_e32 v24, s[10:11]
	;; [unrolled: 1-line block ×3, first 2 shown]
	s_waitcnt lgkmcnt(0)
	s_bitcmp1_b32 s2, 0
	s_cselect_b64 s[0:1], -1, 0
	s_bitcmp1_b32 s2, 8
	s_cselect_b64 s[18:19], -1, 0
	;; [unrolled: 2-line block ×3, first 2 shown]
	s_and_b32 s7, s7, 0xff
	s_lshl_b32 s22, s7, 3
	s_load_dwordx2 s[14:15], s[4:5], s22 offset:0x480
	s_ashr_i32 s7, s6, 31
	s_lshl_b64 s[16:17], s[6:7], 16
	s_load_dwordx2 s[8:9], s[4:5], s22 offset:0x0
	s_load_dwordx2 s[10:11], s[4:5], s22 offset:0x180
	s_load_dwordx2 s[12:13], s[4:5], s22 offset:0x300
	s_waitcnt lgkmcnt(0)
	s_sub_u32 s22, s14, s16
	s_subb_u32 s23, s15, s17
	s_lshl_b64 s[24:25], s[6:7], 18
	s_add_u32 s33, s8, s24
	s_addc_u32 s38, s9, s25
	s_and_b32 s6, s33, 15
	s_add_u32 s36, s10, s24
	s_addc_u32 s39, s11, s25
	s_and_b32 s16, s36, 15
	s_mov_b32 s7, 0
	s_add_u32 s37, s12, s24
	s_addc_u32 s40, s13, s25
	s_and_b32 s26, s37, 15
	s_mov_b32 s27, s7
	s_and_b32 s14, s14, 3
	s_mov_b32 s15, s7
	s_mov_b32 s17, s7
	s_or_b64 s[14:15], s[14:15], s[26:27]
	s_or_b64 s[14:15], s[14:15], s[16:17]
	;; [unrolled: 1-line block ×3, first 2 shown]
	s_cmp_eq_u64 s[6:7], 0
	s_mov_b64 s[6:7], -1
	s_cbranch_scc1 .LBB1_61
; %bb.7:
	v_cmp_lt_i64_e64 s[6:7], s[22:23], 1
	s_and_b64 vcc, exec, s[6:7]
	s_cbranch_vccnz .LBB1_60
; %bb.8:
	v_mov_b32_e32 v1, 0x10000
	s_load_dword s14, s[4:5], 0xc9c
	v_mov_b32_e32 v2, 0
	v_cmp_lt_i64_e32 vcc, s[22:23], v[1:2]
	v_mov_b32_e32 v2, 0
	s_and_b64 s[6:7], vcc, exec
	s_cselect_b32 s27, s23, 0
	s_cselect_b32 s26, s22, 0x10000
	s_waitcnt lgkmcnt(0)
	s_and_b32 s16, s14, 0xffff
	v_lshlrev_b32_e32 v1, 2, v0
	v_mad_u64_u32 v[8:9], s[14:15], s16, 12, v[1:2]
	v_mov_b32_e32 v5, s9
	v_mov_b32_e32 v7, s11
	v_add_co_u32_e32 v4, vcc, s8, v8
	v_addc_co_u32_e32 v5, vcc, v5, v9, vcc
	v_add_co_u32_e32 v6, vcc, s10, v8
	s_lshl_b32 s17, s16, 1
	v_addc_co_u32_e32 v7, vcc, v7, v9, vcc
	s_cmp_lg_u64 s[20:21], 0
	v_mov_b32_e32 v10, s13
	v_add_co_u32_e32 v8, vcc, s12, v8
	s_cselect_b64 s[30:31], -1, 0
	v_addc_co_u32_e32 v9, vcc, v10, v9, vcc
	s_lshl_b32 s14, s16, 3
	v_add_co_u32_e32 v14, vcc, s14, v1
	v_addc_co_u32_e64 v15, s[14:15], 0, 0, vcc
	v_mov_b32_e32 v11, s9
	v_add_co_u32_e32 v10, vcc, s8, v14
	v_addc_co_u32_e32 v11, vcc, v11, v15, vcc
	v_mov_b32_e32 v13, s11
	v_add_co_u32_e32 v12, vcc, s10, v14
	v_addc_co_u32_e32 v13, vcc, v13, v15, vcc
	;; [unrolled: 3-line block ×6, first 2 shown]
	v_add_co_u32_e32 v21, vcc, s16, v0
	v_lshlrev_b32_e32 v30, 2, v21
	v_addc_co_u32_e64 v25, s[14:15], 0, 0, vcc
	v_mov_b32_e32 v27, s9
	v_add_co_u32_e32 v26, vcc, s8, v30
	v_addc_co_u32_e32 v27, vcc, 0, v27, vcc
	v_mov_b32_e32 v29, s11
	v_add_co_u32_e32 v28, vcc, s10, v30
	v_addc_co_u32_e32 v29, vcc, 0, v29, vcc
	v_mov_b32_e32 v31, s13
	v_add_co_u32_e32 v30, vcc, s12, v30
	s_mul_i32 s34, s16, 3
	v_addc_co_u32_e32 v31, vcc, 0, v31, vcc
	v_add_co_u32_e32 v33, vcc, s34, v0
	v_addc_co_u32_e64 v34, s[8:9], 0, 0, vcc
	v_add_co_u32_e32 v35, vcc, s17, v0
	s_mov_b64 s[28:29], 0
	v_cmp_neq_f32_e64 s[6:7], 0, v23
	s_lshl_b32 s41, s16, 2
	s_lshl_b32 s42, s16, 4
	v_sub_f32_e32 v32, 1.0, v3
	v_addc_co_u32_e64 v36, s[8:9], 0, 0, vcc
	s_branch .LBB1_10
.LBB1_9:                                ;   in Loop: Header=BB1_10 Depth=1
	s_or_b64 exec, exec, s[8:9]
	v_add_co_u32_e32 v16, vcc, s42, v16
	v_addc_co_u32_e32 v17, vcc, 0, v17, vcc
	v_add_co_u32_e32 v18, vcc, s42, v18
	v_addc_co_u32_e32 v19, vcc, 0, v19, vcc
	;; [unrolled: 2-line block ×10, first 2 shown]
	s_add_u32 s28, s28, s41
	v_add_co_u32_e32 v28, vcc, s42, v28
	v_mov_b32_e32 v38, s27
	s_addc_u32 s29, s29, 0
	v_addc_co_u32_e32 v29, vcc, 0, v29, vcc
	v_mov_b32_e32 v37, s26
	v_cmp_lt_i64_e32 vcc, s[28:29], v[37:38]
	v_add_co_u32_e64 v30, s[8:9], s42, v30
	v_addc_co_u32_e64 v31, s[8:9], 0, v31, s[8:9]
	s_cbranch_vccz .LBB1_60
.LBB1_10:                               ; =>This Inner Loop Header: Depth=1
	v_mov_b32_e32 v38, s29
	v_add_co_u32_e32 v37, vcc, s28, v0
	v_addc_co_u32_e32 v38, vcc, 0, v38, vcc
	v_cmp_gt_i64_e64 s[8:9], s[26:27], v[37:38]
	v_mov_b32_e32 v37, 0
	v_mov_b32_e32 v41, 0
	s_and_saveexec_b64 s[10:11], s[8:9]
	s_cbranch_execz .LBB1_12
; %bb.11:                               ;   in Loop: Header=BB1_10 Depth=1
	v_mov_b32_e32 v37, s25
	v_add_co_u32_e32 v38, vcc, s24, v18
	v_addc_co_u32_e32 v39, vcc, v19, v37, vcc
	v_add_co_u32_e32 v42, vcc, s24, v16
	v_addc_co_u32_e32 v43, vcc, v17, v37, vcc
	global_load_dword v41, v[42:43], off
	global_load_dword v37, v[38:39], off
.LBB1_12:                               ;   in Loop: Header=BB1_10 Depth=1
	s_or_b64 exec, exec, s[10:11]
	v_mov_b32_e32 v38, 0
	v_mov_b32_e32 v43, 0
	s_and_saveexec_b64 s[10:11], s[8:9]
	s_cbranch_execz .LBB1_14
; %bb.13:                               ;   in Loop: Header=BB1_10 Depth=1
	v_mov_b32_e32 v40, s25
	v_add_co_u32_e32 v39, vcc, s24, v1
	v_addc_co_u32_e32 v40, vcc, v20, v40, vcc
	global_load_dword v43, v[39:40], off
.LBB1_14:                               ;   in Loop: Header=BB1_10 Depth=1
	s_or_b64 exec, exec, s[10:11]
	v_mov_b32_e32 v40, s29
	v_add_co_u32_e32 v39, vcc, s28, v21
	v_addc_co_u32_e32 v40, vcc, v25, v40, vcc
	v_cmp_gt_i64_e64 s[10:11], s[26:27], v[39:40]
	v_mov_b32_e32 v42, 0
	s_and_saveexec_b64 s[12:13], s[10:11]
	s_cbranch_execz .LBB1_16
; %bb.15:                               ;   in Loop: Header=BB1_10 Depth=1
	v_mov_b32_e32 v38, s25
	v_add_co_u32_e32 v39, vcc, s24, v28
	v_addc_co_u32_e32 v40, vcc, v29, v38, vcc
	v_add_co_u32_e32 v44, vcc, s24, v26
	v_addc_co_u32_e32 v45, vcc, v27, v38, vcc
	global_load_dword v42, v[44:45], off
	global_load_dword v38, v[39:40], off
.LBB1_16:                               ;   in Loop: Header=BB1_10 Depth=1
	s_or_b64 exec, exec, s[12:13]
	v_mov_b32_e32 v39, 0
	v_mov_b32_e32 v45, 0
	s_and_saveexec_b64 s[12:13], s[10:11]
	s_cbranch_execz .LBB1_18
; %bb.17:                               ;   in Loop: Header=BB1_10 Depth=1
	v_mov_b32_e32 v40, s25
	v_add_co_u32_e32 v44, vcc, s24, v30
	v_addc_co_u32_e32 v45, vcc, v31, v40, vcc
	global_load_dword v45, v[44:45], off
.LBB1_18:                               ;   in Loop: Header=BB1_10 Depth=1
	s_or_b64 exec, exec, s[12:13]
	v_mov_b32_e32 v40, s29
	v_add_co_u32_e32 v46, vcc, s28, v35
	v_addc_co_u32_e32 v47, vcc, v36, v40, vcc
	v_cmp_gt_i64_e64 s[12:13], s[26:27], v[46:47]
	;; [unrolled: 28-line block ×3, first 2 shown]
	v_mov_b32_e32 v46, 0
	s_and_saveexec_b64 s[16:17], s[14:15]
	s_cbranch_execz .LBB1_24
; %bb.23:                               ;   in Loop: Header=BB1_10 Depth=1
	v_mov_b32_e32 v40, s25
	v_add_co_u32_e32 v48, vcc, s24, v6
	v_addc_co_u32_e32 v49, vcc, v7, v40, vcc
	v_add_co_u32_e32 v50, vcc, s24, v4
	v_addc_co_u32_e32 v51, vcc, v5, v40, vcc
	global_load_dword v46, v[50:51], off
	global_load_dword v40, v[48:49], off
.LBB1_24:                               ;   in Loop: Header=BB1_10 Depth=1
	s_or_b64 exec, exec, s[16:17]
	v_mov_b32_e32 v48, 0
	s_and_saveexec_b64 s[16:17], s[14:15]
	s_cbranch_execz .LBB1_26
; %bb.25:                               ;   in Loop: Header=BB1_10 Depth=1
	v_mov_b32_e32 v49, s25
	v_add_co_u32_e32 v48, vcc, s24, v8
	v_addc_co_u32_e32 v49, vcc, v9, v49, vcc
	global_load_dword v48, v[48:49], off
.LBB1_26:                               ;   in Loop: Header=BB1_10 Depth=1
	s_or_b64 exec, exec, s[16:17]
	v_cndmask_b32_e64 v49, 0, 1, s[30:31]
	v_cmp_ne_u32_e64 s[16:17], 1, v49
	s_andn2_b64 vcc, exec, s[30:31]
	s_cbranch_vccnz .LBB1_28
; %bb.27:                               ;   in Loop: Header=BB1_10 Depth=1
	global_load_dword v49, v2, s[20:21]
	s_waitcnt vmcnt(0)
	v_div_scale_f32 v50, s[34:35], v49, v49, v37
	v_div_scale_f32 v51, vcc, v37, v49, v37
	v_rcp_f32_e32 v52, v50
	v_fma_f32 v53, -v50, v52, 1.0
	v_fmac_f32_e32 v52, v53, v52
	v_mul_f32_e32 v53, v51, v52
	v_fma_f32 v54, -v50, v53, v51
	v_fmac_f32_e32 v53, v54, v52
	v_fma_f32 v50, -v50, v53, v51
	v_div_fmas_f32 v50, v50, v52, v53
	v_div_fixup_f32 v37, v50, v49, v37
.LBB1_28:                               ;   in Loop: Header=BB1_10 Depth=1
	s_and_b64 vcc, exec, s[16:17]
	s_cbranch_vccnz .LBB1_30
; %bb.29:                               ;   in Loop: Header=BB1_10 Depth=1
	global_load_dword v49, v2, s[20:21]
	s_waitcnt vmcnt(0)
	v_div_scale_f32 v50, s[34:35], v49, v49, v38
	v_div_scale_f32 v51, vcc, v38, v49, v38
	v_rcp_f32_e32 v52, v50
	v_fma_f32 v53, -v50, v52, 1.0
	v_fmac_f32_e32 v52, v53, v52
	v_mul_f32_e32 v53, v51, v52
	v_fma_f32 v54, -v50, v53, v51
	v_fmac_f32_e32 v53, v54, v52
	v_fma_f32 v50, -v50, v53, v51
	v_div_fmas_f32 v50, v50, v52, v53
	v_div_fixup_f32 v38, v50, v49, v38
.LBB1_30:                               ;   in Loop: Header=BB1_10 Depth=1
	s_and_b64 vcc, exec, s[16:17]
	;; [unrolled: 17-line block ×3, first 2 shown]
	s_cbranch_vccnz .LBB1_34
; %bb.33:                               ;   in Loop: Header=BB1_10 Depth=1
	global_load_dword v49, v2, s[20:21]
	s_waitcnt vmcnt(0)
	v_div_scale_f32 v50, s[34:35], v49, v49, v40
	v_div_scale_f32 v51, vcc, v40, v49, v40
	v_rcp_f32_e32 v52, v50
	v_fma_f32 v53, -v50, v52, 1.0
	v_fmac_f32_e32 v52, v53, v52
	v_mul_f32_e32 v53, v51, v52
	v_fma_f32 v54, -v50, v53, v51
	v_fmac_f32_e32 v53, v54, v52
	v_fma_f32 v50, -v50, v53, v51
	v_div_fmas_f32 v50, v50, v52, v53
	v_div_fixup_f32 v40, v50, v49, v40
.LBB1_34:                               ;   in Loop: Header=BB1_10 Depth=1
	s_waitcnt vmcnt(0)
	v_cndmask_b32_e64 v49, v37, -v37, s[18:19]
	v_fma_f32 v50, v41, v23, v49
	v_cndmask_b32_e64 v49, v49, v50, s[6:7]
	v_mul_f32_e32 v50, v32, v49
	v_fmac_f32_e32 v50, v43, v24
	v_cndmask_b32_e64 v43, v50, v49, s[2:3]
	s_and_saveexec_b64 s[34:35], s[8:9]
	s_cbranch_execz .LBB1_36
; %bb.35:                               ;   in Loop: Header=BB1_10 Depth=1
	v_fmac_f32_e32 v49, v43, v24
	v_cndmask_b32_e64 v49, v43, v49, s[0:1]
	v_fma_f32 v41, -v22, v49, v41
	v_mov_b32_e32 v50, s25
	v_add_co_u32_e32 v49, vcc, s24, v16
	v_addc_co_u32_e32 v50, vcc, v17, v50, vcc
	global_store_dword v[49:50], v41, off
.LBB1_36:                               ;   in Loop: Header=BB1_10 Depth=1
	s_or_b64 exec, exec, s[34:35]
	v_cndmask_b32_e64 v41, v38, -v38, s[18:19]
	v_fma_f32 v49, v42, v23, v41
	v_cndmask_b32_e64 v49, v41, v49, s[6:7]
	v_mul_f32_e32 v41, v32, v49
	v_fmac_f32_e32 v41, v45, v24
	v_cndmask_b32_e64 v41, v41, v49, s[2:3]
	s_and_saveexec_b64 s[34:35], s[10:11]
	s_cbranch_execz .LBB1_38
; %bb.37:                               ;   in Loop: Header=BB1_10 Depth=1
	v_fmac_f32_e32 v49, v41, v24
	v_cndmask_b32_e64 v45, v41, v49, s[0:1]
	v_fma_f32 v42, -v22, v45, v42
	v_mov_b32_e32 v45, s25
	v_add_co_u32_e32 v49, vcc, s24, v26
	v_addc_co_u32_e32 v50, vcc, v27, v45, vcc
	global_store_dword v[49:50], v42, off
.LBB1_38:                               ;   in Loop: Header=BB1_10 Depth=1
	s_or_b64 exec, exec, s[34:35]
	v_cndmask_b32_e64 v42, v39, -v39, s[18:19]
	v_fma_f32 v45, v44, v23, v42
	v_cndmask_b32_e64 v45, v42, v45, s[6:7]
	v_mul_f32_e32 v42, v32, v45
	v_fmac_f32_e32 v42, v47, v24
	v_cndmask_b32_e64 v42, v42, v45, s[2:3]
	s_and_saveexec_b64 s[34:35], s[12:13]
	s_cbranch_execz .LBB1_40
; %bb.39:                               ;   in Loop: Header=BB1_10 Depth=1
	v_fmac_f32_e32 v45, v42, v24
	v_cndmask_b32_e64 v45, v42, v45, s[0:1]
	v_fma_f32 v47, -v22, v45, v44
	v_mov_b32_e32 v45, s25
	v_add_co_u32_e32 v44, vcc, s24, v10
	v_addc_co_u32_e32 v45, vcc, v11, v45, vcc
	global_store_dword v[44:45], v47, off
.LBB1_40:                               ;   in Loop: Header=BB1_10 Depth=1
	s_or_b64 exec, exec, s[34:35]
	v_cndmask_b32_e64 v44, v40, -v40, s[18:19]
	v_fma_f32 v45, v46, v23, v44
	v_cndmask_b32_e64 v45, v44, v45, s[6:7]
	v_mul_f32_e32 v44, v32, v45
	v_fmac_f32_e32 v44, v48, v24
	v_cndmask_b32_e64 v44, v44, v45, s[2:3]
	s_and_saveexec_b64 s[34:35], s[14:15]
	s_cbranch_execz .LBB1_42
; %bb.41:                               ;   in Loop: Header=BB1_10 Depth=1
	v_fmac_f32_e32 v45, v44, v24
	v_cndmask_b32_e64 v45, v44, v45, s[0:1]
	v_fma_f32 v47, -v22, v45, v46
	v_mov_b32_e32 v46, s25
	v_add_co_u32_e32 v45, vcc, s24, v4
	v_addc_co_u32_e32 v46, vcc, v5, v46, vcc
	global_store_dword v[45:46], v47, off
.LBB1_42:                               ;   in Loop: Header=BB1_10 Depth=1
	s_or_b64 exec, exec, s[34:35]
	s_and_b64 vcc, exec, s[16:17]
	s_cbranch_vccnz .LBB1_49
; %bb.43:                               ;   in Loop: Header=BB1_10 Depth=1
	s_and_saveexec_b64 s[16:17], s[8:9]
	s_cbranch_execnz .LBB1_57
; %bb.44:                               ;   in Loop: Header=BB1_10 Depth=1
	s_or_b64 exec, exec, s[16:17]
	s_and_saveexec_b64 s[16:17], s[10:11]
	s_cbranch_execnz .LBB1_58
.LBB1_45:                               ;   in Loop: Header=BB1_10 Depth=1
	s_or_b64 exec, exec, s[16:17]
	s_and_saveexec_b64 s[16:17], s[12:13]
	s_cbranch_execnz .LBB1_59
.LBB1_46:                               ;   in Loop: Header=BB1_10 Depth=1
	s_or_b64 exec, exec, s[16:17]
	s_and_saveexec_b64 s[16:17], s[14:15]
	s_cbranch_execz .LBB1_48
.LBB1_47:                               ;   in Loop: Header=BB1_10 Depth=1
	v_mov_b32_e32 v38, s25
	v_add_co_u32_e32 v37, vcc, s24, v6
	v_addc_co_u32_e32 v38, vcc, v7, v38, vcc
	global_store_dword v[37:38], v40, off
.LBB1_48:                               ;   in Loop: Header=BB1_10 Depth=1
	s_or_b64 exec, exec, s[16:17]
.LBB1_49:                               ;   in Loop: Header=BB1_10 Depth=1
	s_and_saveexec_b64 s[16:17], s[8:9]
	s_cbranch_execnz .LBB1_53
; %bb.50:                               ;   in Loop: Header=BB1_10 Depth=1
	s_or_b64 exec, exec, s[16:17]
	s_and_saveexec_b64 s[8:9], s[10:11]
	s_cbranch_execnz .LBB1_54
.LBB1_51:                               ;   in Loop: Header=BB1_10 Depth=1
	s_or_b64 exec, exec, s[8:9]
	s_and_saveexec_b64 s[8:9], s[12:13]
	s_cbranch_execnz .LBB1_55
.LBB1_52:                               ;   in Loop: Header=BB1_10 Depth=1
	s_or_b64 exec, exec, s[8:9]
	s_and_saveexec_b64 s[8:9], s[14:15]
	s_cbranch_execz .LBB1_9
	s_branch .LBB1_56
.LBB1_53:                               ;   in Loop: Header=BB1_10 Depth=1
	v_mov_b32_e32 v38, s25
	v_add_co_u32_e32 v37, vcc, s24, v1
	v_addc_co_u32_e32 v38, vcc, v20, v38, vcc
	global_store_dword v[37:38], v43, off
	s_or_b64 exec, exec, s[16:17]
	s_and_saveexec_b64 s[8:9], s[10:11]
	s_cbranch_execz .LBB1_51
.LBB1_54:                               ;   in Loop: Header=BB1_10 Depth=1
	v_mov_b32_e32 v38, s25
	v_add_co_u32_e32 v37, vcc, s24, v30
	v_addc_co_u32_e32 v38, vcc, v31, v38, vcc
	global_store_dword v[37:38], v41, off
	s_or_b64 exec, exec, s[8:9]
	s_and_saveexec_b64 s[8:9], s[12:13]
	s_cbranch_execz .LBB1_52
.LBB1_55:                               ;   in Loop: Header=BB1_10 Depth=1
	v_mov_b32_e32 v38, s25
	v_add_co_u32_e32 v37, vcc, s24, v14
	v_addc_co_u32_e32 v38, vcc, v15, v38, vcc
	global_store_dword v[37:38], v42, off
	s_or_b64 exec, exec, s[8:9]
	s_and_saveexec_b64 s[8:9], s[14:15]
	s_cbranch_execz .LBB1_9
.LBB1_56:                               ;   in Loop: Header=BB1_10 Depth=1
	v_mov_b32_e32 v38, s25
	v_add_co_u32_e32 v37, vcc, s24, v8
	v_addc_co_u32_e32 v38, vcc, v9, v38, vcc
	global_store_dword v[37:38], v44, off
	s_branch .LBB1_9
.LBB1_57:                               ;   in Loop: Header=BB1_10 Depth=1
	v_mov_b32_e32 v46, s25
	v_add_co_u32_e32 v45, vcc, s24, v18
	v_addc_co_u32_e32 v46, vcc, v19, v46, vcc
	global_store_dword v[45:46], v37, off
	s_or_b64 exec, exec, s[16:17]
	s_and_saveexec_b64 s[16:17], s[10:11]
	s_cbranch_execz .LBB1_45
.LBB1_58:                               ;   in Loop: Header=BB1_10 Depth=1
	v_mov_b32_e32 v37, s25
	v_add_co_u32_e32 v45, vcc, s24, v28
	v_addc_co_u32_e32 v46, vcc, v29, v37, vcc
	global_store_dword v[45:46], v38, off
	s_or_b64 exec, exec, s[16:17]
	s_and_saveexec_b64 s[16:17], s[12:13]
	s_cbranch_execz .LBB1_46
.LBB1_59:                               ;   in Loop: Header=BB1_10 Depth=1
	v_mov_b32_e32 v38, s25
	v_add_co_u32_e32 v37, vcc, s24, v12
	v_addc_co_u32_e32 v38, vcc, v13, v38, vcc
	global_store_dword v[37:38], v39, off
	s_or_b64 exec, exec, s[16:17]
	s_and_saveexec_b64 s[16:17], s[14:15]
	s_cbranch_execnz .LBB1_47
	s_branch .LBB1_48
.LBB1_60:
	s_mov_b64 s[6:7], 0
.LBB1_61:
	s_andn2_b64 vcc, exec, s[6:7]
	s_cbranch_vccnz .LBB1_75
; %bb.62:
	v_mov_b32_e32 v13, 0
	v_lshlrev_b32_e32 v12, 2, v0
	v_cmp_gt_i64_e32 vcc, s[22:23], v[12:13]
	s_and_saveexec_b64 s[6:7], vcc
	s_cbranch_execz .LBB1_75
; %bb.63:
	s_load_dword s8, s[4:5], 0xc9c
	s_cmp_lg_u64 s[20:21], 0
	s_cselect_b64 s[6:7], -1, 0
	v_cndmask_b32_e64 v2, 0, 1, s[6:7]
	v_mov_b32_e32 v1, v13
	s_waitcnt lgkmcnt(0)
	s_and_b32 s12, s8, 0xffff
	v_add_lshl_u32 v12, v0, s12, 2
	v_mov_b32_e32 v15, v13
	s_mov_b64 s[10:11], 0
	v_cmp_neq_f32_e64 s[4:5], 0, v23
	v_sub_f32_e32 v25, 1.0, v3
	v_add_u32_e32 v26, s12, v0
	s_lshl_b32 s13, s12, 2
	v_mov_b32_e32 v27, s38
	v_mov_b32_e32 v28, s39
	;; [unrolled: 1-line block ×3, first 2 shown]
	v_cmp_ne_u32_e64 s[6:7], 1, v2
	s_movk_i32 s14, 0x3fff
	v_mov_b32_e32 v14, v12
	v_mov_b32_e32 v12, v0
	s_branch .LBB1_65
.LBB1_64:                               ;   in Loop: Header=BB1_65 Depth=1
	v_cmp_le_u64_e32 vcc, s[22:23], v[14:15]
	v_cmp_lt_u32_e64 s[8:9], s14, v26
	v_add_u32_e32 v12, s12, v12
	s_or_b64 s[8:9], vcc, s[8:9]
	v_add_co_u32_e32 v14, vcc, s13, v14
	s_and_b64 s[8:9], exec, s[8:9]
	v_mov_b32_e32 v0, v12
	v_add_u32_e32 v26, s12, v26
	v_addc_co_u32_e32 v15, vcc, 0, v15, vcc
	s_or_b64 s[10:11], s[8:9], s[10:11]
	v_mov_b32_e32 v1, v13
	global_store_dwordx4 v[18:19], v[8:11], off
	s_andn2_b64 exec, exec, s[10:11]
	s_cbranch_execz .LBB1_75
.LBB1_65:                               ; =>This Inner Loop Header: Depth=1
	v_lshlrev_b64 v[8:9], 4, v[0:1]
	v_add_co_u32_e32 v20, vcc, s33, v8
	v_addc_co_u32_e32 v21, vcc, v27, v9, vcc
	v_add_co_u32_e32 v16, vcc, s36, v8
	v_addc_co_u32_e32 v17, vcc, v28, v9, vcc
	;; [unrolled: 2-line block ×3, first 2 shown]
	global_load_dwordx4 v[4:7], v[20:21], off
	global_load_dwordx4 v[0:3], v[16:17], off
	;; [unrolled: 1-line block ×3, first 2 shown]
	s_and_b64 vcc, exec, s[6:7]
	s_cbranch_vccnz .LBB1_67
; %bb.66:                               ;   in Loop: Header=BB1_65 Depth=1
	global_load_dword v30, v13, s[20:21]
	s_waitcnt vmcnt(0)
	v_div_scale_f32 v31, s[8:9], v30, v30, v0
	v_div_scale_f32 v32, vcc, v0, v30, v0
	v_rcp_f32_e32 v33, v31
	v_fma_f32 v34, -v31, v33, 1.0
	v_fmac_f32_e32 v33, v34, v33
	v_mul_f32_e32 v34, v32, v33
	v_fma_f32 v35, -v31, v34, v32
	v_fmac_f32_e32 v34, v35, v33
	v_fma_f32 v31, -v31, v34, v32
	v_div_fmas_f32 v31, v31, v33, v34
	v_div_fixup_f32 v0, v31, v30, v0
.LBB1_67:                               ;   in Loop: Header=BB1_65 Depth=1
	s_and_b64 vcc, exec, s[6:7]
	s_cbranch_vccnz .LBB1_69
; %bb.68:                               ;   in Loop: Header=BB1_65 Depth=1
	global_load_dword v30, v13, s[20:21]
	s_waitcnt vmcnt(0)
	v_div_scale_f32 v31, s[8:9], v30, v30, v1
	v_div_scale_f32 v32, vcc, v1, v30, v1
	v_rcp_f32_e32 v33, v31
	v_fma_f32 v34, -v31, v33, 1.0
	v_fmac_f32_e32 v33, v34, v33
	v_mul_f32_e32 v34, v32, v33
	v_fma_f32 v35, -v31, v34, v32
	v_fmac_f32_e32 v34, v35, v33
	v_fma_f32 v31, -v31, v34, v32
	v_div_fmas_f32 v31, v31, v33, v34
	v_div_fixup_f32 v1, v31, v30, v1
.LBB1_69:                               ;   in Loop: Header=BB1_65 Depth=1
	;; [unrolled: 17-line block ×4, first 2 shown]
	s_waitcnt vmcnt(1)
	v_cndmask_b32_e64 v30, v2, -v2, s[18:19]
	v_fma_f32 v31, v6, v23, v30
	v_cndmask_b32_e64 v30, v30, v31, s[4:5]
	v_mul_f32_e32 v31, v25, v30
	s_waitcnt vmcnt(0)
	v_fmac_f32_e32 v31, v10, v24
	v_cndmask_b32_e64 v10, v31, v30, s[2:3]
	v_fmac_f32_e32 v30, v10, v24
	v_cndmask_b32_e64 v30, v10, v30, s[0:1]
	v_fma_f32 v6, -v22, v30, v6
	v_cndmask_b32_e64 v30, v1, -v1, s[18:19]
	v_fma_f32 v31, v5, v23, v30
	v_cndmask_b32_e64 v30, v30, v31, s[4:5]
	v_mul_f32_e32 v31, v25, v30
	v_fmac_f32_e32 v31, v9, v24
	v_cndmask_b32_e64 v9, v31, v30, s[2:3]
	v_fmac_f32_e32 v30, v9, v24
	v_cndmask_b32_e64 v30, v9, v30, s[0:1]
	v_fma_f32 v5, -v22, v30, v5
	v_cndmask_b32_e64 v30, v0, -v0, s[18:19]
	v_fma_f32 v31, v4, v23, v30
	v_cndmask_b32_e64 v30, v30, v31, s[4:5]
	v_mul_f32_e32 v31, v25, v30
	;; [unrolled: 9-line block ×3, first 2 shown]
	v_fmac_f32_e32 v31, v11, v24
	v_cndmask_b32_e64 v11, v31, v30, s[2:3]
	v_fmac_f32_e32 v30, v11, v24
	v_cndmask_b32_e64 v30, v11, v30, s[0:1]
	v_fma_f32 v7, -v22, v30, v7
	s_and_b64 vcc, exec, s[6:7]
	global_store_dwordx4 v[20:21], v[4:7], off
	s_cbranch_vccnz .LBB1_64
; %bb.74:                               ;   in Loop: Header=BB1_65 Depth=1
	global_store_dwordx4 v[16:17], v[0:3], off
	s_branch .LBB1_64
.LBB1_75:
	s_endpgm
.LBB1_76:
                                        ; implicit-def: $sgpr12
	s_load_dword s6, s[0:1], 0x740
	v_mov_b32_e32 v22, s12
	s_branch .LBB1_5
	.section	.rodata,"a",@progbits
	.p2align	6, 0x0
	.amdhsa_kernel _ZN2at6native12_GLOBAL__N_125multi_tensor_apply_kernelINS1_18TensorListMetadataILi3EEENS1_19FusedSgdMathFunctorIfLi3EEEJddPfddbbbS7_S7_EEEvT_T0_DpT1_
		.amdhsa_group_segment_fixed_size 0
		.amdhsa_private_segment_fixed_size 0
		.amdhsa_kernarg_size 3472
		.amdhsa_user_sgpr_count 6
		.amdhsa_user_sgpr_private_segment_buffer 1
		.amdhsa_user_sgpr_dispatch_ptr 0
		.amdhsa_user_sgpr_queue_ptr 0
		.amdhsa_user_sgpr_kernarg_segment_ptr 1
		.amdhsa_user_sgpr_dispatch_id 0
		.amdhsa_user_sgpr_flat_scratch_init 0
		.amdhsa_user_sgpr_private_segment_size 0
		.amdhsa_uses_dynamic_stack 0
		.amdhsa_system_sgpr_private_segment_wavefront_offset 0
		.amdhsa_system_sgpr_workgroup_id_x 1
		.amdhsa_system_sgpr_workgroup_id_y 0
		.amdhsa_system_sgpr_workgroup_id_z 0
		.amdhsa_system_sgpr_workgroup_info 0
		.amdhsa_system_vgpr_workitem_id 0
		.amdhsa_next_free_vgpr 55
		.amdhsa_next_free_sgpr 43
		.amdhsa_reserve_vcc 1
		.amdhsa_reserve_flat_scratch 0
		.amdhsa_float_round_mode_32 0
		.amdhsa_float_round_mode_16_64 0
		.amdhsa_float_denorm_mode_32 3
		.amdhsa_float_denorm_mode_16_64 3
		.amdhsa_dx10_clamp 1
		.amdhsa_ieee_mode 1
		.amdhsa_fp16_overflow 0
		.amdhsa_exception_fp_ieee_invalid_op 0
		.amdhsa_exception_fp_denorm_src 0
		.amdhsa_exception_fp_ieee_div_zero 0
		.amdhsa_exception_fp_ieee_overflow 0
		.amdhsa_exception_fp_ieee_underflow 0
		.amdhsa_exception_fp_ieee_inexact 0
		.amdhsa_exception_int_div_zero 0
	.end_amdhsa_kernel
	.section	.text._ZN2at6native12_GLOBAL__N_125multi_tensor_apply_kernelINS1_18TensorListMetadataILi3EEENS1_19FusedSgdMathFunctorIfLi3EEEJddPfddbbbS7_S7_EEEvT_T0_DpT1_,"axG",@progbits,_ZN2at6native12_GLOBAL__N_125multi_tensor_apply_kernelINS1_18TensorListMetadataILi3EEENS1_19FusedSgdMathFunctorIfLi3EEEJddPfddbbbS7_S7_EEEvT_T0_DpT1_,comdat
.Lfunc_end1:
	.size	_ZN2at6native12_GLOBAL__N_125multi_tensor_apply_kernelINS1_18TensorListMetadataILi3EEENS1_19FusedSgdMathFunctorIfLi3EEEJddPfddbbbS7_S7_EEEvT_T0_DpT1_, .Lfunc_end1-_ZN2at6native12_GLOBAL__N_125multi_tensor_apply_kernelINS1_18TensorListMetadataILi3EEENS1_19FusedSgdMathFunctorIfLi3EEEJddPfddbbbS7_S7_EEEvT_T0_DpT1_
                                        ; -- End function
	.set _ZN2at6native12_GLOBAL__N_125multi_tensor_apply_kernelINS1_18TensorListMetadataILi3EEENS1_19FusedSgdMathFunctorIfLi3EEEJddPfddbbbS7_S7_EEEvT_T0_DpT1_.num_vgpr, 55
	.set _ZN2at6native12_GLOBAL__N_125multi_tensor_apply_kernelINS1_18TensorListMetadataILi3EEENS1_19FusedSgdMathFunctorIfLi3EEEJddPfddbbbS7_S7_EEEvT_T0_DpT1_.num_agpr, 0
	.set _ZN2at6native12_GLOBAL__N_125multi_tensor_apply_kernelINS1_18TensorListMetadataILi3EEENS1_19FusedSgdMathFunctorIfLi3EEEJddPfddbbbS7_S7_EEEvT_T0_DpT1_.numbered_sgpr, 43
	.set _ZN2at6native12_GLOBAL__N_125multi_tensor_apply_kernelINS1_18TensorListMetadataILi3EEENS1_19FusedSgdMathFunctorIfLi3EEEJddPfddbbbS7_S7_EEEvT_T0_DpT1_.num_named_barrier, 0
	.set _ZN2at6native12_GLOBAL__N_125multi_tensor_apply_kernelINS1_18TensorListMetadataILi3EEENS1_19FusedSgdMathFunctorIfLi3EEEJddPfddbbbS7_S7_EEEvT_T0_DpT1_.private_seg_size, 0
	.set _ZN2at6native12_GLOBAL__N_125multi_tensor_apply_kernelINS1_18TensorListMetadataILi3EEENS1_19FusedSgdMathFunctorIfLi3EEEJddPfddbbbS7_S7_EEEvT_T0_DpT1_.uses_vcc, 1
	.set _ZN2at6native12_GLOBAL__N_125multi_tensor_apply_kernelINS1_18TensorListMetadataILi3EEENS1_19FusedSgdMathFunctorIfLi3EEEJddPfddbbbS7_S7_EEEvT_T0_DpT1_.uses_flat_scratch, 0
	.set _ZN2at6native12_GLOBAL__N_125multi_tensor_apply_kernelINS1_18TensorListMetadataILi3EEENS1_19FusedSgdMathFunctorIfLi3EEEJddPfddbbbS7_S7_EEEvT_T0_DpT1_.has_dyn_sized_stack, 0
	.set _ZN2at6native12_GLOBAL__N_125multi_tensor_apply_kernelINS1_18TensorListMetadataILi3EEENS1_19FusedSgdMathFunctorIfLi3EEEJddPfddbbbS7_S7_EEEvT_T0_DpT1_.has_recursion, 0
	.set _ZN2at6native12_GLOBAL__N_125multi_tensor_apply_kernelINS1_18TensorListMetadataILi3EEENS1_19FusedSgdMathFunctorIfLi3EEEJddPfddbbbS7_S7_EEEvT_T0_DpT1_.has_indirect_call, 0
	.section	.AMDGPU.csdata,"",@progbits
; Kernel info:
; codeLenInByte = 3304
; TotalNumSgprs: 47
; NumVgprs: 55
; ScratchSize: 0
; MemoryBound: 0
; FloatMode: 240
; IeeeMode: 1
; LDSByteSize: 0 bytes/workgroup (compile time only)
; SGPRBlocks: 5
; VGPRBlocks: 13
; NumSGPRsForWavesPerEU: 47
; NumVGPRsForWavesPerEU: 55
; Occupancy: 4
; WaveLimiterHint : 0
; COMPUTE_PGM_RSRC2:SCRATCH_EN: 0
; COMPUTE_PGM_RSRC2:USER_SGPR: 6
; COMPUTE_PGM_RSRC2:TRAP_HANDLER: 0
; COMPUTE_PGM_RSRC2:TGID_X_EN: 1
; COMPUTE_PGM_RSRC2:TGID_Y_EN: 0
; COMPUTE_PGM_RSRC2:TGID_Z_EN: 0
; COMPUTE_PGM_RSRC2:TIDIG_COMP_CNT: 0
	.section	.text._ZN2at6native12_GLOBAL__N_125multi_tensor_apply_kernelINS1_18TensorListMetadataILi3EEENS1_19FusedSgdMathFunctorIN3c104HalfELi3EEEJddPfddbbbS9_S9_EEEvT_T0_DpT1_,"axG",@progbits,_ZN2at6native12_GLOBAL__N_125multi_tensor_apply_kernelINS1_18TensorListMetadataILi3EEENS1_19FusedSgdMathFunctorIN3c104HalfELi3EEEJddPfddbbbS9_S9_EEEvT_T0_DpT1_,comdat
	.globl	_ZN2at6native12_GLOBAL__N_125multi_tensor_apply_kernelINS1_18TensorListMetadataILi3EEENS1_19FusedSgdMathFunctorIN3c104HalfELi3EEEJddPfddbbbS9_S9_EEEvT_T0_DpT1_ ; -- Begin function _ZN2at6native12_GLOBAL__N_125multi_tensor_apply_kernelINS1_18TensorListMetadataILi3EEENS1_19FusedSgdMathFunctorIN3c104HalfELi3EEEJddPfddbbbS9_S9_EEEvT_T0_DpT1_
	.p2align	8
	.type	_ZN2at6native12_GLOBAL__N_125multi_tensor_apply_kernelINS1_18TensorListMetadataILi3EEENS1_19FusedSgdMathFunctorIN3c104HalfELi3EEEJddPfddbbbS9_S9_EEEvT_T0_DpT1_,@function
_ZN2at6native12_GLOBAL__N_125multi_tensor_apply_kernelINS1_18TensorListMetadataILi3EEENS1_19FusedSgdMathFunctorIN3c104HalfELi3EEEJddPfddbbbS9_S9_EEEvT_T0_DpT1_: ; @_ZN2at6native12_GLOBAL__N_125multi_tensor_apply_kernelINS1_18TensorListMetadataILi3EEENS1_19FusedSgdMathFunctorIN3c104HalfELi3EEEJddPfddbbbS9_S9_EEEvT_T0_DpT1_
; %bb.0:
	s_load_dwordx4 s[20:23], s[4:5], 0xc80
	s_waitcnt lgkmcnt(0)
	s_cmp_eq_u64 s[22:23], 0
	s_cselect_b64 s[0:1], -1, 0
	s_and_b64 vcc, exec, s[0:1]
	s_cbranch_vccnz .LBB2_2
; %bb.1:
	s_load_dword s0, s[22:23], 0x0
	s_waitcnt lgkmcnt(0)
	v_cmp_neq_f32_e64 s[0:1], s0, 1.0
.LBB2_2:
	s_andn2_b64 vcc, exec, s[0:1]
	s_cbranch_vccnz .LBB2_75
; %bb.3:
	v_mov_b32_e32 v1, s6
	global_load_ubyte v1, v1, s[4:5] offset:1536
	s_load_dwordx2 s[16:17], s[4:5], 0xc70
	s_load_dwordx8 s[8:15], s[4:5], 0xc50
	s_add_u32 s0, s4, s6
	s_mul_hi_u32 s1, s6, 3
	s_mul_i32 s6, s6, 3
	s_addc_u32 s2, s5, 0
	s_add_u32 s0, s0, s6
	s_addc_u32 s1, s2, s1
	s_waitcnt lgkmcnt(0)
	s_cmp_eq_u64 s[12:13], 0
	s_mov_b64 s[2:3], 0
	s_waitcnt vmcnt(0)
	v_readfirstlane_b32 s7, v1
	s_cbranch_scc1 .LBB2_76
; %bb.4:
	s_load_dword s12, s[12:13], 0x0
	s_nop 0
	s_load_dword s6, s[0:1], 0x740
	s_andn2_b64 vcc, exec, s[2:3]
	s_waitcnt lgkmcnt(0)
	v_mov_b32_e32 v16, s12
	s_cbranch_vccnz .LBB2_6
.LBB2_5:
	v_cvt_f32_f64_e32 v16, s[14:15]
.LBB2_6:
	s_load_dword s2, s[4:5], 0xc78
	v_cvt_f32_f64_e32 v17, s[8:9]
	v_cvt_f32_f64_e32 v18, s[10:11]
	;; [unrolled: 1-line block ×3, first 2 shown]
	s_waitcnt lgkmcnt(0)
	s_bitcmp1_b32 s2, 0
	s_cselect_b64 s[0:1], -1, 0
	s_bitcmp1_b32 s2, 8
	s_cselect_b64 s[18:19], -1, 0
	;; [unrolled: 2-line block ×3, first 2 shown]
	s_and_b32 s7, s7, 0xff
	s_lshl_b32 s22, s7, 3
	s_load_dwordx2 s[14:15], s[4:5], s22 offset:0x480
	s_ashr_i32 s7, s6, 31
	s_lshl_b64 s[16:17], s[6:7], 16
	s_load_dwordx2 s[8:9], s[4:5], s22 offset:0x0
	s_load_dwordx2 s[10:11], s[4:5], s22 offset:0x180
	;; [unrolled: 1-line block ×3, first 2 shown]
	s_waitcnt lgkmcnt(0)
	s_sub_u32 s22, s14, s16
	s_subb_u32 s23, s15, s17
	s_lshl_b64 s[24:25], s[6:7], 17
	s_add_u32 s33, s8, s24
	s_addc_u32 s38, s9, s25
	s_and_b32 s6, s33, 7
	s_add_u32 s36, s10, s24
	s_addc_u32 s39, s11, s25
	s_and_b32 s16, s36, 7
	s_mov_b32 s7, 0
	s_add_u32 s37, s12, s24
	s_addc_u32 s40, s13, s25
	s_and_b32 s26, s37, 7
	s_mov_b32 s27, s7
	s_and_b32 s14, s14, 3
	s_mov_b32 s15, s7
	s_mov_b32 s17, s7
	s_or_b64 s[14:15], s[14:15], s[26:27]
	s_or_b64 s[14:15], s[14:15], s[16:17]
	;; [unrolled: 1-line block ×3, first 2 shown]
	s_cmp_eq_u64 s[6:7], 0
	s_mov_b64 s[6:7], -1
	s_cbranch_scc1 .LBB2_61
; %bb.7:
	v_cmp_lt_i64_e64 s[6:7], s[22:23], 1
	s_and_b64 vcc, exec, s[6:7]
	s_cbranch_vccnz .LBB2_60
; %bb.8:
	v_mov_b32_e32 v1, 0x10000
	s_load_dword s14, s[4:5], 0xc9c
	v_mov_b32_e32 v2, 0
	v_cmp_lt_i64_e32 vcc, s[22:23], v[1:2]
	v_mov_b32_e32 v22, 0
	s_and_b64 s[6:7], vcc, exec
	s_cselect_b32 s27, s23, 0
	s_cselect_b32 s26, s22, 0x10000
	s_waitcnt lgkmcnt(0)
	s_and_b32 s14, s14, 0xffff
	v_lshlrev_b32_e32 v21, 1, v0
	v_mad_u64_u32 v[6:7], s[6:7], s14, 6, v[21:22]
	v_mov_b32_e32 v2, s9
	v_mov_b32_e32 v5, s11
	v_add_co_u32_e32 v1, vcc, s8, v6
	v_addc_co_u32_e32 v2, vcc, v2, v7, vcc
	v_add_co_u32_e32 v3, vcc, s10, v6
	s_lshl_b32 s16, s14, 1
	v_addc_co_u32_e32 v5, vcc, v5, v7, vcc
	s_cmp_lg_u64 s[20:21], 0
	v_mov_b32_e32 v8, s13
	v_add_co_u32_e32 v6, vcc, s12, v6
	s_cselect_b64 s[28:29], -1, 0
	s_lshl_b32 s41, s14, 2
	v_addc_co_u32_e32 v7, vcc, v8, v7, vcc
	v_add_co_u32_e32 v12, vcc, s41, v21
	v_addc_co_u32_e64 v13, s[6:7], 0, 0, vcc
	v_mov_b32_e32 v9, s9
	v_add_co_u32_e32 v8, vcc, s8, v12
	v_addc_co_u32_e32 v9, vcc, v9, v13, vcc
	v_mov_b32_e32 v11, s11
	v_add_co_u32_e32 v10, vcc, s10, v12
	v_addc_co_u32_e32 v11, vcc, v11, v13, vcc
	;; [unrolled: 3-line block ×6, first 2 shown]
	v_add_co_u32_e32 v23, vcc, s14, v0
	v_lshlrev_b32_e32 v29, 1, v23
	s_mul_i32 s17, s14, 3
	s_lshl_b32 s42, s14, 3
	v_addc_co_u32_e64 v24, s[14:15], 0, 0, vcc
	v_mov_b32_e32 v26, s9
	v_add_co_u32_e32 v25, vcc, s8, v29
	v_addc_co_u32_e32 v26, vcc, 0, v26, vcc
	v_mov_b32_e32 v28, s11
	v_add_co_u32_e32 v27, vcc, s10, v29
	v_addc_co_u32_e32 v28, vcc, 0, v28, vcc
	;; [unrolled: 3-line block ×3, first 2 shown]
	v_add_co_u32_e32 v32, vcc, s17, v0
	v_addc_co_u32_e64 v33, s[8:9], 0, 0, vcc
	v_add_co_u32_e32 v34, vcc, s16, v0
	s_mov_b64 s[30:31], 0
	v_cmp_neq_f32_e64 s[6:7], 0, v17
	v_sub_f32_e32 v31, 1.0, v4
	v_addc_co_u32_e64 v35, s[8:9], 0, 0, vcc
	s_branch .LBB2_10
.LBB2_9:                                ;   in Loop: Header=BB2_10 Depth=1
	s_or_b64 exec, exec, s[8:9]
	v_add_co_u32_e32 v14, vcc, s42, v14
	v_addc_co_u32_e32 v15, vcc, 0, v15, vcc
	v_add_co_u32_e32 v19, vcc, s42, v19
	v_addc_co_u32_e32 v20, vcc, 0, v20, vcc
	;; [unrolled: 2-line block ×10, first 2 shown]
	s_add_u32 s30, s30, s41
	v_add_co_u32_e32 v27, vcc, s42, v27
	v_mov_b32_e32 v37, s27
	s_addc_u32 s31, s31, 0
	v_addc_co_u32_e32 v28, vcc, 0, v28, vcc
	v_mov_b32_e32 v36, s26
	v_cmp_lt_i64_e32 vcc, s[30:31], v[36:37]
	v_add_co_u32_e64 v29, s[8:9], s42, v29
	v_addc_co_u32_e64 v30, s[8:9], 0, v30, s[8:9]
	s_cbranch_vccz .LBB2_60
.LBB2_10:                               ; =>This Inner Loop Header: Depth=1
	v_mov_b32_e32 v37, s31
	v_add_co_u32_e32 v36, vcc, s30, v0
	v_addc_co_u32_e32 v37, vcc, 0, v37, vcc
	v_cmp_gt_i64_e64 s[8:9], s[26:27], v[36:37]
	v_mov_b32_e32 v40, 0
	v_mov_b32_e32 v36, 0
	v_mov_b32_e32 v39, 0
	s_and_saveexec_b64 s[10:11], s[8:9]
	s_cbranch_execz .LBB2_12
; %bb.11:                               ;   in Loop: Header=BB2_10 Depth=1
	v_mov_b32_e32 v38, s25
	v_add_co_u32_e32 v36, vcc, s24, v14
	v_addc_co_u32_e32 v37, vcc, v15, v38, vcc
	global_load_ushort v39, v[36:37], off
	v_add_co_u32_e32 v36, vcc, s24, v19
	v_addc_co_u32_e32 v37, vcc, v20, v38, vcc
	global_load_ushort v36, v[36:37], off
	s_waitcnt vmcnt(1)
	v_cvt_f32_f16_e32 v39, v39
.LBB2_12:                               ;   in Loop: Header=BB2_10 Depth=1
	s_or_b64 exec, exec, s[10:11]
	s_and_saveexec_b64 s[10:11], s[8:9]
	s_cbranch_execz .LBB2_14
; %bb.13:                               ;   in Loop: Header=BB2_10 Depth=1
	v_mov_b32_e32 v38, s25
	v_add_co_u32_e32 v37, vcc, s24, v21
	v_addc_co_u32_e32 v38, vcc, v22, v38, vcc
	global_load_ushort v37, v[37:38], off
	s_waitcnt vmcnt(0)
	v_cvt_f32_f16_e32 v40, v37
.LBB2_14:                               ;   in Loop: Header=BB2_10 Depth=1
	s_or_b64 exec, exec, s[10:11]
	v_mov_b32_e32 v38, s31
	v_add_co_u32_e32 v37, vcc, s30, v23
	v_addc_co_u32_e32 v38, vcc, v24, v38, vcc
	v_cmp_gt_i64_e64 s[10:11], s[26:27], v[37:38]
	v_mov_b32_e32 v41, 0
	v_mov_b32_e32 v42, 0
	v_mov_b32_e32 v37, 0
	s_and_saveexec_b64 s[12:13], s[10:11]
	s_cbranch_execz .LBB2_16
; %bb.15:                               ;   in Loop: Header=BB2_10 Depth=1
	v_mov_b32_e32 v41, s25
	v_add_co_u32_e32 v37, vcc, s24, v25
	v_addc_co_u32_e32 v38, vcc, v26, v41, vcc
	global_load_ushort v43, v[37:38], off
	v_add_co_u32_e32 v37, vcc, s24, v27
	v_addc_co_u32_e32 v38, vcc, v28, v41, vcc
	global_load_ushort v37, v[37:38], off
	s_waitcnt vmcnt(1)
	v_cvt_f32_f16_e32 v41, v43
.LBB2_16:                               ;   in Loop: Header=BB2_10 Depth=1
	s_or_b64 exec, exec, s[12:13]
	s_and_saveexec_b64 s[12:13], s[10:11]
	s_cbranch_execz .LBB2_18
; %bb.17:                               ;   in Loop: Header=BB2_10 Depth=1
	v_mov_b32_e32 v38, s25
	v_add_co_u32_e32 v42, vcc, s24, v29
	v_addc_co_u32_e32 v43, vcc, v30, v38, vcc
	global_load_ushort v38, v[42:43], off
	s_waitcnt vmcnt(0)
	v_cvt_f32_f16_e32 v42, v38
.LBB2_18:                               ;   in Loop: Header=BB2_10 Depth=1
	s_or_b64 exec, exec, s[12:13]
	v_mov_b32_e32 v38, s31
	v_add_co_u32_e32 v43, vcc, s30, v34
	v_addc_co_u32_e32 v44, vcc, v35, v38, vcc
	v_cmp_gt_i64_e64 s[12:13], s[26:27], v[43:44]
	v_mov_b32_e32 v44, 0
	v_mov_b32_e32 v45, 0
	v_mov_b32_e32 v38, 0
	s_and_saveexec_b64 s[14:15], s[12:13]
	s_cbranch_execz .LBB2_20
; %bb.19:                               ;   in Loop: Header=BB2_10 Depth=1
	v_mov_b32_e32 v38, s25
	v_add_co_u32_e32 v43, vcc, s24, v8
	v_addc_co_u32_e32 v44, vcc, v9, v38, vcc
	global_load_ushort v46, v[43:44], off
	v_add_co_u32_e32 v43, vcc, s24, v10
	v_addc_co_u32_e32 v44, vcc, v11, v38, vcc
	global_load_ushort v38, v[43:44], off
	s_waitcnt vmcnt(1)
	v_cvt_f32_f16_e32 v44, v46
.LBB2_20:                               ;   in Loop: Header=BB2_10 Depth=1
	s_or_b64 exec, exec, s[14:15]
	s_and_saveexec_b64 s[14:15], s[12:13]
	s_cbranch_execz .LBB2_22
; %bb.21:                               ;   in Loop: Header=BB2_10 Depth=1
	v_mov_b32_e32 v43, s25
	v_add_co_u32_e32 v45, vcc, s24, v12
	v_addc_co_u32_e32 v46, vcc, v13, v43, vcc
	global_load_ushort v43, v[45:46], off
	s_waitcnt vmcnt(0)
	v_cvt_f32_f16_e32 v45, v43
.LBB2_22:                               ;   in Loop: Header=BB2_10 Depth=1
	s_or_b64 exec, exec, s[14:15]
	v_mov_b32_e32 v43, s31
	v_add_co_u32_e32 v46, vcc, s30, v32
	v_addc_co_u32_e32 v47, vcc, v33, v43, vcc
	v_cmp_gt_i64_e64 s[14:15], s[26:27], v[46:47]
	v_mov_b32_e32 v46, 0
	v_mov_b32_e32 v47, 0
	v_mov_b32_e32 v43, 0
	s_and_saveexec_b64 s[16:17], s[14:15]
	s_cbranch_execz .LBB2_24
; %bb.23:                               ;   in Loop: Header=BB2_10 Depth=1
	v_mov_b32_e32 v43, s25
	v_add_co_u32_e32 v48, vcc, s24, v1
	v_addc_co_u32_e32 v49, vcc, v2, v43, vcc
	global_load_ushort v46, v[48:49], off
	v_add_co_u32_e32 v48, vcc, s24, v3
	v_addc_co_u32_e32 v49, vcc, v5, v43, vcc
	global_load_ushort v43, v[48:49], off
	s_waitcnt vmcnt(1)
	v_cvt_f32_f16_e32 v46, v46
.LBB2_24:                               ;   in Loop: Header=BB2_10 Depth=1
	s_or_b64 exec, exec, s[16:17]
	s_and_saveexec_b64 s[16:17], s[14:15]
	s_cbranch_execz .LBB2_26
; %bb.25:                               ;   in Loop: Header=BB2_10 Depth=1
	v_mov_b32_e32 v48, s25
	v_add_co_u32_e32 v47, vcc, s24, v6
	v_addc_co_u32_e32 v48, vcc, v7, v48, vcc
	global_load_ushort v47, v[47:48], off
	s_waitcnt vmcnt(0)
	v_cvt_f32_f16_e32 v47, v47
.LBB2_26:                               ;   in Loop: Header=BB2_10 Depth=1
	s_or_b64 exec, exec, s[16:17]
	s_waitcnt vmcnt(0)
	v_cvt_f32_f16_e32 v48, v36
	v_cndmask_b32_e64 v49, 0, 1, s[28:29]
	v_cmp_ne_u32_e64 s[16:17], 1, v49
	s_andn2_b64 vcc, exec, s[28:29]
	s_cbranch_vccnz .LBB2_28
; %bb.27:                               ;   in Loop: Header=BB2_10 Depth=1
	s_load_dword s43, s[20:21], 0x0
	s_waitcnt lgkmcnt(0)
	v_div_scale_f32 v36, s[34:35], s43, s43, v48
	v_div_scale_f32 v49, vcc, v48, s43, v48
	v_rcp_f32_e32 v50, v36
	v_fma_f32 v51, -v36, v50, 1.0
	v_fmac_f32_e32 v50, v51, v50
	v_mul_f32_e32 v51, v49, v50
	v_fma_f32 v52, -v36, v51, v49
	v_fmac_f32_e32 v51, v52, v50
	v_fma_f32 v36, -v36, v51, v49
	v_div_fmas_f32 v36, v36, v50, v51
	v_div_fixup_f32 v48, v36, s43, v48
	v_cvt_f16_f32_e32 v36, v48
.LBB2_28:                               ;   in Loop: Header=BB2_10 Depth=1
	v_cvt_f32_f16_e32 v49, v37
	s_and_b64 vcc, exec, s[16:17]
	s_cbranch_vccnz .LBB2_30
; %bb.29:                               ;   in Loop: Header=BB2_10 Depth=1
	s_load_dword s43, s[20:21], 0x0
	s_waitcnt lgkmcnt(0)
	v_div_scale_f32 v37, s[34:35], s43, s43, v49
	v_div_scale_f32 v50, vcc, v49, s43, v49
	v_rcp_f32_e32 v51, v37
	v_fma_f32 v52, -v37, v51, 1.0
	v_fmac_f32_e32 v51, v52, v51
	v_mul_f32_e32 v52, v50, v51
	v_fma_f32 v53, -v37, v52, v50
	v_fmac_f32_e32 v52, v53, v51
	v_fma_f32 v37, -v37, v52, v50
	v_div_fmas_f32 v37, v37, v51, v52
	v_div_fixup_f32 v49, v37, s43, v49
	v_cvt_f16_f32_e32 v37, v49
.LBB2_30:                               ;   in Loop: Header=BB2_10 Depth=1
	v_cvt_f32_f16_e32 v50, v38
	s_and_b64 vcc, exec, s[16:17]
	;; [unrolled: 19-line block ×3, first 2 shown]
	s_cbranch_vccnz .LBB2_34
; %bb.33:                               ;   in Loop: Header=BB2_10 Depth=1
	s_load_dword s43, s[20:21], 0x0
	s_waitcnt lgkmcnt(0)
	v_div_scale_f32 v43, s[34:35], s43, s43, v51
	v_div_scale_f32 v52, vcc, v51, s43, v51
	v_rcp_f32_e32 v53, v43
	v_fma_f32 v54, -v43, v53, 1.0
	v_fmac_f32_e32 v53, v54, v53
	v_mul_f32_e32 v54, v52, v53
	v_fma_f32 v55, -v43, v54, v52
	v_fmac_f32_e32 v54, v55, v53
	v_fma_f32 v43, -v43, v54, v52
	v_div_fmas_f32 v43, v43, v53, v54
	v_div_fixup_f32 v51, v43, s43, v51
	v_cvt_f16_f32_e32 v43, v51
.LBB2_34:                               ;   in Loop: Header=BB2_10 Depth=1
	v_cndmask_b32_e64 v48, v48, -v48, s[18:19]
	v_fma_f32 v52, v39, v17, v48
	v_cndmask_b32_e64 v48, v48, v52, s[6:7]
	v_mul_f32_e32 v52, v31, v48
	v_fmac_f32_e32 v52, v40, v18
	v_cndmask_b32_e64 v40, v52, v48, s[2:3]
	s_and_saveexec_b64 s[34:35], s[8:9]
	s_cbranch_execz .LBB2_36
; %bb.35:                               ;   in Loop: Header=BB2_10 Depth=1
	v_fmac_f32_e32 v48, v40, v18
	v_cndmask_b32_e64 v48, v40, v48, s[0:1]
	v_fma_mixlo_f16 v39, -v16, v48, v39
	v_mov_b32_e32 v48, s25
	v_add_co_u32_e32 v52, vcc, s24, v14
	v_addc_co_u32_e32 v53, vcc, v15, v48, vcc
	global_store_short v[52:53], v39, off
.LBB2_36:                               ;   in Loop: Header=BB2_10 Depth=1
	s_or_b64 exec, exec, s[34:35]
	v_cndmask_b32_e64 v39, v49, -v49, s[18:19]
	v_fma_f32 v48, v41, v17, v39
	v_cndmask_b32_e64 v48, v39, v48, s[6:7]
	v_mul_f32_e32 v39, v31, v48
	v_fmac_f32_e32 v39, v42, v18
	v_cndmask_b32_e64 v39, v39, v48, s[2:3]
	s_and_saveexec_b64 s[34:35], s[10:11]
	s_cbranch_execz .LBB2_38
; %bb.37:                               ;   in Loop: Header=BB2_10 Depth=1
	v_fmac_f32_e32 v48, v39, v18
	v_cndmask_b32_e64 v42, v39, v48, s[0:1]
	v_fma_mixlo_f16 v48, -v16, v42, v41
	v_mov_b32_e32 v42, s25
	v_add_co_u32_e32 v41, vcc, s24, v25
	v_addc_co_u32_e32 v42, vcc, v26, v42, vcc
	global_store_short v[41:42], v48, off
.LBB2_38:                               ;   in Loop: Header=BB2_10 Depth=1
	s_or_b64 exec, exec, s[34:35]
	;; [unrolled: 18-line block ×4, first 2 shown]
	s_and_b64 vcc, exec, s[16:17]
	s_cbranch_vccnz .LBB2_49
; %bb.43:                               ;   in Loop: Header=BB2_10 Depth=1
	s_and_saveexec_b64 s[16:17], s[8:9]
	s_cbranch_execnz .LBB2_57
; %bb.44:                               ;   in Loop: Header=BB2_10 Depth=1
	s_or_b64 exec, exec, s[16:17]
	s_and_saveexec_b64 s[16:17], s[10:11]
	s_cbranch_execnz .LBB2_58
.LBB2_45:                               ;   in Loop: Header=BB2_10 Depth=1
	s_or_b64 exec, exec, s[16:17]
	s_and_saveexec_b64 s[16:17], s[12:13]
	s_cbranch_execnz .LBB2_59
.LBB2_46:                               ;   in Loop: Header=BB2_10 Depth=1
	s_or_b64 exec, exec, s[16:17]
	s_and_saveexec_b64 s[16:17], s[14:15]
	s_cbranch_execz .LBB2_48
.LBB2_47:                               ;   in Loop: Header=BB2_10 Depth=1
	v_mov_b32_e32 v37, s25
	v_add_co_u32_e32 v36, vcc, s24, v3
	v_addc_co_u32_e32 v37, vcc, v5, v37, vcc
	global_store_short v[36:37], v43, off
.LBB2_48:                               ;   in Loop: Header=BB2_10 Depth=1
	s_or_b64 exec, exec, s[16:17]
.LBB2_49:                               ;   in Loop: Header=BB2_10 Depth=1
	s_and_saveexec_b64 s[16:17], s[8:9]
	s_cbranch_execnz .LBB2_53
; %bb.50:                               ;   in Loop: Header=BB2_10 Depth=1
	s_or_b64 exec, exec, s[16:17]
	s_and_saveexec_b64 s[8:9], s[10:11]
	s_cbranch_execnz .LBB2_54
.LBB2_51:                               ;   in Loop: Header=BB2_10 Depth=1
	s_or_b64 exec, exec, s[8:9]
	s_and_saveexec_b64 s[8:9], s[12:13]
	s_cbranch_execnz .LBB2_55
.LBB2_52:                               ;   in Loop: Header=BB2_10 Depth=1
	s_or_b64 exec, exec, s[8:9]
	s_and_saveexec_b64 s[8:9], s[14:15]
	s_cbranch_execz .LBB2_9
	s_branch .LBB2_56
.LBB2_53:                               ;   in Loop: Header=BB2_10 Depth=1
	v_cvt_f16_f32_e32 v38, v40
	v_mov_b32_e32 v37, s25
	v_add_co_u32_e32 v36, vcc, s24, v21
	v_addc_co_u32_e32 v37, vcc, v22, v37, vcc
	global_store_short v[36:37], v38, off
	s_or_b64 exec, exec, s[16:17]
	s_and_saveexec_b64 s[8:9], s[10:11]
	s_cbranch_execz .LBB2_51
.LBB2_54:                               ;   in Loop: Header=BB2_10 Depth=1
	v_cvt_f16_f32_e32 v38, v39
	v_mov_b32_e32 v37, s25
	v_add_co_u32_e32 v36, vcc, s24, v29
	v_addc_co_u32_e32 v37, vcc, v30, v37, vcc
	global_store_short v[36:37], v38, off
	s_or_b64 exec, exec, s[8:9]
	s_and_saveexec_b64 s[8:9], s[12:13]
	s_cbranch_execz .LBB2_52
.LBB2_55:                               ;   in Loop: Header=BB2_10 Depth=1
	v_cvt_f16_f32_e32 v38, v41
	v_mov_b32_e32 v37, s25
	v_add_co_u32_e32 v36, vcc, s24, v12
	v_addc_co_u32_e32 v37, vcc, v13, v37, vcc
	global_store_short v[36:37], v38, off
	s_or_b64 exec, exec, s[8:9]
	s_and_saveexec_b64 s[8:9], s[14:15]
	s_cbranch_execz .LBB2_9
.LBB2_56:                               ;   in Loop: Header=BB2_10 Depth=1
	v_cvt_f16_f32_e32 v38, v42
	v_mov_b32_e32 v37, s25
	v_add_co_u32_e32 v36, vcc, s24, v6
	v_addc_co_u32_e32 v37, vcc, v7, v37, vcc
	global_store_short v[36:37], v38, off
	s_branch .LBB2_9
.LBB2_57:                               ;   in Loop: Header=BB2_10 Depth=1
	v_mov_b32_e32 v45, s25
	v_add_co_u32_e32 v44, vcc, s24, v19
	v_addc_co_u32_e32 v45, vcc, v20, v45, vcc
	global_store_short v[44:45], v36, off
	s_or_b64 exec, exec, s[16:17]
	s_and_saveexec_b64 s[16:17], s[10:11]
	s_cbranch_execz .LBB2_45
.LBB2_58:                               ;   in Loop: Header=BB2_10 Depth=1
	v_mov_b32_e32 v36, s25
	v_add_co_u32_e32 v44, vcc, s24, v27
	v_addc_co_u32_e32 v45, vcc, v28, v36, vcc
	global_store_short v[44:45], v37, off
	s_or_b64 exec, exec, s[16:17]
	s_and_saveexec_b64 s[16:17], s[12:13]
	s_cbranch_execz .LBB2_46
.LBB2_59:                               ;   in Loop: Header=BB2_10 Depth=1
	v_mov_b32_e32 v37, s25
	v_add_co_u32_e32 v36, vcc, s24, v10
	v_addc_co_u32_e32 v37, vcc, v11, v37, vcc
	global_store_short v[36:37], v38, off
	s_or_b64 exec, exec, s[16:17]
	s_and_saveexec_b64 s[16:17], s[14:15]
	s_cbranch_execnz .LBB2_47
	s_branch .LBB2_48
.LBB2_60:
	s_mov_b64 s[6:7], 0
.LBB2_61:
	s_andn2_b64 vcc, exec, s[6:7]
	s_cbranch_vccnz .LBB2_75
; %bb.62:
	v_mov_b32_e32 v3, 0
	v_lshlrev_b32_e32 v2, 2, v0
	v_cmp_gt_i64_e32 vcc, s[22:23], v[2:3]
	s_and_saveexec_b64 s[6:7], vcc
	s_cbranch_execz .LBB2_75
; %bb.63:
	s_load_dword s8, s[4:5], 0xc9c
	s_cmp_lg_u64 s[20:21], 0
	s_cselect_b64 s[6:7], -1, 0
	v_sub_f32_e32 v19, 1.0, v4
	v_cndmask_b32_e64 v4, 0, 1, s[6:7]
	s_waitcnt lgkmcnt(0)
	s_and_b32 s12, s8, 0xffff
	v_add_lshl_u32 v2, v0, s12, 2
	v_cmp_ne_u32_e64 s[6:7], 1, v4
	v_mov_b32_e32 v5, v3
	v_mov_b32_e32 v1, v3
	s_mov_b64 s[10:11], 0
	v_cmp_neq_f32_e64 s[4:5], 0, v17
	v_add_u32_e32 v20, s12, v0
	s_lshl_b32 s13, s12, 2
	v_mov_b32_e32 v21, s38
	v_mov_b32_e32 v22, s39
	;; [unrolled: 1-line block ×3, first 2 shown]
	s_mov_b32 s14, 0x5040100
	s_movk_i32 s15, 0x3fff
	v_mov_b32_e32 v4, v2
	v_mov_b32_e32 v2, v0
	s_branch .LBB2_65
.LBB2_64:                               ;   in Loop: Header=BB2_65 Depth=1
	v_cvt_f16_f32_e32 v6, v13
	v_cvt_f16_f32_e32 v7, v28
	;; [unrolled: 1-line block ×4, first 2 shown]
	v_cmp_le_u64_e32 vcc, s[22:23], v[4:5]
	v_cmp_lt_u32_e64 s[8:9], s15, v20
	v_pack_b32_f16 v7, v7, v6
	v_pack_b32_f16 v6, v9, v8
	v_add_u32_e32 v2, s12, v2
	s_or_b64 s[8:9], vcc, s[8:9]
	global_store_dwordx2 v[0:1], v[6:7], off
	v_add_co_u32_e32 v4, vcc, s13, v4
	s_and_b64 s[8:9], exec, s[8:9]
	v_mov_b32_e32 v0, v2
	v_add_u32_e32 v20, s12, v20
	v_addc_co_u32_e32 v5, vcc, 0, v5, vcc
	s_or_b64 s[10:11], s[8:9], s[10:11]
	v_mov_b32_e32 v1, v3
	s_andn2_b64 exec, exec, s[10:11]
	s_cbranch_execz .LBB2_75
.LBB2_65:                               ; =>This Inner Loop Header: Depth=1
	v_lshlrev_b64 v[0:1], 3, v[0:1]
	v_add_co_u32_e32 v8, vcc, s33, v0
	v_addc_co_u32_e32 v9, vcc, v21, v1, vcc
	v_add_co_u32_e32 v6, vcc, s36, v0
	v_addc_co_u32_e32 v7, vcc, v22, v1, vcc
	global_load_dwordx2 v[14:15], v[6:7], off
	v_add_co_u32_e32 v0, vcc, s37, v0
	v_addc_co_u32_e32 v1, vcc, v23, v1, vcc
	global_load_dwordx2 v[10:11], v[8:9], off
	global_load_dwordx2 v[12:13], v[0:1], off
	s_and_b64 vcc, exec, s[6:7]
	s_waitcnt vmcnt(2)
	v_cvt_f32_f16_e32 v25, v14
	s_cbranch_vccnz .LBB2_73
; %bb.66:                               ;   in Loop: Header=BB2_65 Depth=1
	global_load_dword v24, v3, s[20:21]
	s_waitcnt vmcnt(0)
	v_div_scale_f32 v26, s[8:9], v24, v24, v25
	v_div_scale_f32 v27, vcc, v25, v24, v25
	v_rcp_f32_e32 v28, v26
	v_fma_f32 v29, -v26, v28, 1.0
	v_fmac_f32_e32 v28, v29, v28
	v_mul_f32_e32 v29, v27, v28
	v_fma_f32 v30, -v26, v29, v27
	v_fmac_f32_e32 v29, v30, v28
	v_fma_f32 v26, -v26, v29, v27
	v_div_fmas_f32 v26, v26, v28, v29
	v_div_fixup_f32 v25, v26, v24, v25
	v_cvt_f16_f32_e32 v24, v25
	v_lshrrev_b32_e32 v14, 16, v14
	v_cvt_f32_f16_e32 v26, v14
	s_and_b64 vcc, exec, s[6:7]
	s_cbranch_vccnz .LBB2_68
.LBB2_67:                               ;   in Loop: Header=BB2_65 Depth=1
	global_load_dword v14, v3, s[20:21]
	s_waitcnt vmcnt(0)
	v_div_scale_f32 v27, s[8:9], v14, v14, v26
	v_div_scale_f32 v28, vcc, v26, v14, v26
	v_rcp_f32_e32 v29, v27
	v_fma_f32 v30, -v27, v29, 1.0
	v_fmac_f32_e32 v29, v30, v29
	v_mul_f32_e32 v30, v28, v29
	v_fma_f32 v31, -v27, v30, v28
	v_fmac_f32_e32 v30, v31, v29
	v_fma_f32 v27, -v27, v30, v28
	v_div_fmas_f32 v27, v27, v29, v30
	v_div_fixup_f32 v26, v27, v14, v26
	v_cvt_f16_f32_e32 v14, v26
.LBB2_68:                               ;   in Loop: Header=BB2_65 Depth=1
	v_cvt_f32_f16_e32 v28, v15
	s_and_b64 vcc, exec, s[6:7]
	s_cbranch_vccnz .LBB2_74
; %bb.69:                               ;   in Loop: Header=BB2_65 Depth=1
	global_load_dword v27, v3, s[20:21]
	s_waitcnt vmcnt(0)
	v_div_scale_f32 v29, s[8:9], v27, v27, v28
	v_div_scale_f32 v30, vcc, v28, v27, v28
	v_rcp_f32_e32 v31, v29
	v_fma_f32 v32, -v29, v31, 1.0
	v_fmac_f32_e32 v31, v32, v31
	v_mul_f32_e32 v32, v30, v31
	v_fma_f32 v33, -v29, v32, v30
	v_fmac_f32_e32 v32, v33, v31
	v_fma_f32 v29, -v29, v32, v30
	v_div_fmas_f32 v29, v29, v31, v32
	v_div_fixup_f32 v28, v29, v27, v28
	v_cvt_f16_f32_e32 v27, v28
	v_lshrrev_b32_e32 v15, 16, v15
	v_cvt_f32_f16_e32 v29, v15
	s_and_b64 vcc, exec, s[6:7]
	s_cbranch_vccnz .LBB2_71
.LBB2_70:                               ;   in Loop: Header=BB2_65 Depth=1
	global_load_dword v15, v3, s[20:21]
	s_waitcnt vmcnt(0)
	v_div_scale_f32 v30, s[8:9], v15, v15, v29
	v_div_scale_f32 v31, vcc, v29, v15, v29
	v_rcp_f32_e32 v32, v30
	v_fma_f32 v33, -v30, v32, 1.0
	v_fmac_f32_e32 v32, v33, v32
	v_mul_f32_e32 v33, v31, v32
	v_fma_f32 v34, -v30, v33, v31
	v_fmac_f32_e32 v33, v34, v32
	v_fma_f32 v30, -v30, v33, v31
	v_div_fmas_f32 v30, v30, v32, v33
	v_div_fixup_f32 v29, v30, v15, v29
	v_cvt_f16_f32_e32 v15, v29
.LBB2_71:                               ;   in Loop: Header=BB2_65 Depth=1
	v_cndmask_b32_e64 v28, v28, -v28, s[18:19]
	s_waitcnt vmcnt(1)
	v_fma_mix_f32 v30, v17, v11, v28 op_sel_hi:[0,1,0]
	v_cndmask_b32_e64 v30, v28, v30, s[4:5]
	v_mul_f32_e32 v28, v19, v30
	s_waitcnt vmcnt(0)
	v_fma_mix_f32 v28, v18, v13, v28 op_sel_hi:[0,1,0]
	v_cndmask_b32_e64 v28, v28, v30, s[2:3]
	v_fmac_f32_e32 v30, v28, v18
	v_cndmask_b32_e64 v30, v28, v30, s[0:1]
	v_cndmask_b32_e64 v26, v26, -v26, s[18:19]
	v_fma_mixlo_f16 v31, -v16, v30, v11 op_sel_hi:[0,0,1]
	v_fma_mix_f32 v30, v17, v10, v26 op_sel:[0,1,0] op_sel_hi:[0,1,0]
	v_cndmask_b32_e64 v30, v26, v30, s[4:5]
	v_mul_f32_e32 v26, v19, v30
	v_fma_mix_f32 v26, v18, v12, v26 op_sel:[0,1,0] op_sel_hi:[0,1,0]
	v_cndmask_b32_e64 v26, v26, v30, s[2:3]
	v_fmac_f32_e32 v30, v26, v18
	v_cndmask_b32_e64 v25, v25, -v25, s[18:19]
	v_cndmask_b32_e64 v32, v26, v30, s[0:1]
	v_fma_mix_f32 v30, v17, v10, v25 op_sel_hi:[0,1,0]
	v_cndmask_b32_e64 v25, v25, v30, s[4:5]
	v_mul_f32_e32 v30, v19, v25
	v_fma_mix_f32 v12, v18, v12, v30 op_sel_hi:[0,1,0]
	v_cndmask_b32_e64 v12, v12, v25, s[2:3]
	v_fmac_f32_e32 v25, v12, v18
	v_cndmask_b32_e64 v25, v12, v25, s[0:1]
	v_fma_mixlo_f16 v30, -v16, v25, v10 op_sel_hi:[0,0,1]
	v_cndmask_b32_e64 v25, v29, -v29, s[18:19]
	v_fma_mix_f32 v29, v17, v11, v25 op_sel:[0,1,0] op_sel_hi:[0,1,0]
	v_cndmask_b32_e64 v25, v25, v29, s[4:5]
	v_mul_f32_e32 v29, v19, v25
	v_fma_mix_f32 v13, v18, v13, v29 op_sel:[0,1,0] op_sel_hi:[0,1,0]
	v_cndmask_b32_e64 v13, v13, v25, s[2:3]
	v_fmac_f32_e32 v25, v13, v18
	v_cndmask_b32_e64 v25, v13, v25, s[0:1]
	v_fma_mixhi_f16 v31, -v16, v25, v11 op_sel:[0,0,1] op_sel_hi:[0,0,1]
	v_fma_mixhi_f16 v30, -v16, v32, v10 op_sel:[0,0,1] op_sel_hi:[0,0,1]
	s_and_b64 vcc, exec, s[6:7]
	global_store_dwordx2 v[8:9], v[30:31], off
	s_cbranch_vccnz .LBB2_64
; %bb.72:                               ;   in Loop: Header=BB2_65 Depth=1
	v_perm_b32 v9, v15, v27, s14
	v_perm_b32 v8, v14, v24, s14
	global_store_dwordx2 v[6:7], v[8:9], off
	s_branch .LBB2_64
.LBB2_73:                               ;   in Loop: Header=BB2_65 Depth=1
	v_mov_b32_e32 v24, v14
	v_lshrrev_b32_e32 v14, 16, v14
	v_cvt_f32_f16_e32 v26, v14
	s_and_b64 vcc, exec, s[6:7]
	s_cbranch_vccz .LBB2_67
	s_branch .LBB2_68
.LBB2_74:                               ;   in Loop: Header=BB2_65 Depth=1
	v_mov_b32_e32 v27, v15
	v_lshrrev_b32_e32 v15, 16, v15
	v_cvt_f32_f16_e32 v29, v15
	s_and_b64 vcc, exec, s[6:7]
	s_cbranch_vccz .LBB2_70
	s_branch .LBB2_71
.LBB2_75:
	s_endpgm
.LBB2_76:
                                        ; implicit-def: $sgpr12
	s_load_dword s6, s[0:1], 0x740
	v_mov_b32_e32 v16, s12
	s_branch .LBB2_5
	.section	.rodata,"a",@progbits
	.p2align	6, 0x0
	.amdhsa_kernel _ZN2at6native12_GLOBAL__N_125multi_tensor_apply_kernelINS1_18TensorListMetadataILi3EEENS1_19FusedSgdMathFunctorIN3c104HalfELi3EEEJddPfddbbbS9_S9_EEEvT_T0_DpT1_
		.amdhsa_group_segment_fixed_size 0
		.amdhsa_private_segment_fixed_size 0
		.amdhsa_kernarg_size 3472
		.amdhsa_user_sgpr_count 6
		.amdhsa_user_sgpr_private_segment_buffer 1
		.amdhsa_user_sgpr_dispatch_ptr 0
		.amdhsa_user_sgpr_queue_ptr 0
		.amdhsa_user_sgpr_kernarg_segment_ptr 1
		.amdhsa_user_sgpr_dispatch_id 0
		.amdhsa_user_sgpr_flat_scratch_init 0
		.amdhsa_user_sgpr_private_segment_size 0
		.amdhsa_uses_dynamic_stack 0
		.amdhsa_system_sgpr_private_segment_wavefront_offset 0
		.amdhsa_system_sgpr_workgroup_id_x 1
		.amdhsa_system_sgpr_workgroup_id_y 0
		.amdhsa_system_sgpr_workgroup_id_z 0
		.amdhsa_system_sgpr_workgroup_info 0
		.amdhsa_system_vgpr_workitem_id 0
		.amdhsa_next_free_vgpr 56
		.amdhsa_next_free_sgpr 44
		.amdhsa_reserve_vcc 1
		.amdhsa_reserve_flat_scratch 0
		.amdhsa_float_round_mode_32 0
		.amdhsa_float_round_mode_16_64 0
		.amdhsa_float_denorm_mode_32 3
		.amdhsa_float_denorm_mode_16_64 3
		.amdhsa_dx10_clamp 1
		.amdhsa_ieee_mode 1
		.amdhsa_fp16_overflow 0
		.amdhsa_exception_fp_ieee_invalid_op 0
		.amdhsa_exception_fp_denorm_src 0
		.amdhsa_exception_fp_ieee_div_zero 0
		.amdhsa_exception_fp_ieee_overflow 0
		.amdhsa_exception_fp_ieee_underflow 0
		.amdhsa_exception_fp_ieee_inexact 0
		.amdhsa_exception_int_div_zero 0
	.end_amdhsa_kernel
	.section	.text._ZN2at6native12_GLOBAL__N_125multi_tensor_apply_kernelINS1_18TensorListMetadataILi3EEENS1_19FusedSgdMathFunctorIN3c104HalfELi3EEEJddPfddbbbS9_S9_EEEvT_T0_DpT1_,"axG",@progbits,_ZN2at6native12_GLOBAL__N_125multi_tensor_apply_kernelINS1_18TensorListMetadataILi3EEENS1_19FusedSgdMathFunctorIN3c104HalfELi3EEEJddPfddbbbS9_S9_EEEvT_T0_DpT1_,comdat
.Lfunc_end2:
	.size	_ZN2at6native12_GLOBAL__N_125multi_tensor_apply_kernelINS1_18TensorListMetadataILi3EEENS1_19FusedSgdMathFunctorIN3c104HalfELi3EEEJddPfddbbbS9_S9_EEEvT_T0_DpT1_, .Lfunc_end2-_ZN2at6native12_GLOBAL__N_125multi_tensor_apply_kernelINS1_18TensorListMetadataILi3EEENS1_19FusedSgdMathFunctorIN3c104HalfELi3EEEJddPfddbbbS9_S9_EEEvT_T0_DpT1_
                                        ; -- End function
	.set _ZN2at6native12_GLOBAL__N_125multi_tensor_apply_kernelINS1_18TensorListMetadataILi3EEENS1_19FusedSgdMathFunctorIN3c104HalfELi3EEEJddPfddbbbS9_S9_EEEvT_T0_DpT1_.num_vgpr, 56
	.set _ZN2at6native12_GLOBAL__N_125multi_tensor_apply_kernelINS1_18TensorListMetadataILi3EEENS1_19FusedSgdMathFunctorIN3c104HalfELi3EEEJddPfddbbbS9_S9_EEEvT_T0_DpT1_.num_agpr, 0
	.set _ZN2at6native12_GLOBAL__N_125multi_tensor_apply_kernelINS1_18TensorListMetadataILi3EEENS1_19FusedSgdMathFunctorIN3c104HalfELi3EEEJddPfddbbbS9_S9_EEEvT_T0_DpT1_.numbered_sgpr, 44
	.set _ZN2at6native12_GLOBAL__N_125multi_tensor_apply_kernelINS1_18TensorListMetadataILi3EEENS1_19FusedSgdMathFunctorIN3c104HalfELi3EEEJddPfddbbbS9_S9_EEEvT_T0_DpT1_.num_named_barrier, 0
	.set _ZN2at6native12_GLOBAL__N_125multi_tensor_apply_kernelINS1_18TensorListMetadataILi3EEENS1_19FusedSgdMathFunctorIN3c104HalfELi3EEEJddPfddbbbS9_S9_EEEvT_T0_DpT1_.private_seg_size, 0
	.set _ZN2at6native12_GLOBAL__N_125multi_tensor_apply_kernelINS1_18TensorListMetadataILi3EEENS1_19FusedSgdMathFunctorIN3c104HalfELi3EEEJddPfddbbbS9_S9_EEEvT_T0_DpT1_.uses_vcc, 1
	.set _ZN2at6native12_GLOBAL__N_125multi_tensor_apply_kernelINS1_18TensorListMetadataILi3EEENS1_19FusedSgdMathFunctorIN3c104HalfELi3EEEJddPfddbbbS9_S9_EEEvT_T0_DpT1_.uses_flat_scratch, 0
	.set _ZN2at6native12_GLOBAL__N_125multi_tensor_apply_kernelINS1_18TensorListMetadataILi3EEENS1_19FusedSgdMathFunctorIN3c104HalfELi3EEEJddPfddbbbS9_S9_EEEvT_T0_DpT1_.has_dyn_sized_stack, 0
	.set _ZN2at6native12_GLOBAL__N_125multi_tensor_apply_kernelINS1_18TensorListMetadataILi3EEENS1_19FusedSgdMathFunctorIN3c104HalfELi3EEEJddPfddbbbS9_S9_EEEvT_T0_DpT1_.has_recursion, 0
	.set _ZN2at6native12_GLOBAL__N_125multi_tensor_apply_kernelINS1_18TensorListMetadataILi3EEENS1_19FusedSgdMathFunctorIN3c104HalfELi3EEEJddPfddbbbS9_S9_EEEvT_T0_DpT1_.has_indirect_call, 0
	.section	.AMDGPU.csdata,"",@progbits
; Kernel info:
; codeLenInByte = 3576
; TotalNumSgprs: 48
; NumVgprs: 56
; ScratchSize: 0
; MemoryBound: 0
; FloatMode: 240
; IeeeMode: 1
; LDSByteSize: 0 bytes/workgroup (compile time only)
; SGPRBlocks: 5
; VGPRBlocks: 13
; NumSGPRsForWavesPerEU: 48
; NumVGPRsForWavesPerEU: 56
; Occupancy: 4
; WaveLimiterHint : 0
; COMPUTE_PGM_RSRC2:SCRATCH_EN: 0
; COMPUTE_PGM_RSRC2:USER_SGPR: 6
; COMPUTE_PGM_RSRC2:TRAP_HANDLER: 0
; COMPUTE_PGM_RSRC2:TGID_X_EN: 1
; COMPUTE_PGM_RSRC2:TGID_Y_EN: 0
; COMPUTE_PGM_RSRC2:TGID_Z_EN: 0
; COMPUTE_PGM_RSRC2:TIDIG_COMP_CNT: 0
	.section	.text._ZN2at6native12_GLOBAL__N_125multi_tensor_apply_kernelINS1_18TensorListMetadataILi3EEENS1_19FusedSgdMathFunctorIN3c108BFloat16ELi3EEEJddPfddbbbS9_S9_EEEvT_T0_DpT1_,"axG",@progbits,_ZN2at6native12_GLOBAL__N_125multi_tensor_apply_kernelINS1_18TensorListMetadataILi3EEENS1_19FusedSgdMathFunctorIN3c108BFloat16ELi3EEEJddPfddbbbS9_S9_EEEvT_T0_DpT1_,comdat
	.globl	_ZN2at6native12_GLOBAL__N_125multi_tensor_apply_kernelINS1_18TensorListMetadataILi3EEENS1_19FusedSgdMathFunctorIN3c108BFloat16ELi3EEEJddPfddbbbS9_S9_EEEvT_T0_DpT1_ ; -- Begin function _ZN2at6native12_GLOBAL__N_125multi_tensor_apply_kernelINS1_18TensorListMetadataILi3EEENS1_19FusedSgdMathFunctorIN3c108BFloat16ELi3EEEJddPfddbbbS9_S9_EEEvT_T0_DpT1_
	.p2align	8
	.type	_ZN2at6native12_GLOBAL__N_125multi_tensor_apply_kernelINS1_18TensorListMetadataILi3EEENS1_19FusedSgdMathFunctorIN3c108BFloat16ELi3EEEJddPfddbbbS9_S9_EEEvT_T0_DpT1_,@function
_ZN2at6native12_GLOBAL__N_125multi_tensor_apply_kernelINS1_18TensorListMetadataILi3EEENS1_19FusedSgdMathFunctorIN3c108BFloat16ELi3EEEJddPfddbbbS9_S9_EEEvT_T0_DpT1_: ; @_ZN2at6native12_GLOBAL__N_125multi_tensor_apply_kernelINS1_18TensorListMetadataILi3EEENS1_19FusedSgdMathFunctorIN3c108BFloat16ELi3EEEJddPfddbbbS9_S9_EEEvT_T0_DpT1_
; %bb.0:
	s_load_dwordx4 s[20:23], s[4:5], 0xc80
	s_waitcnt lgkmcnt(0)
	s_cmp_eq_u64 s[22:23], 0
	s_cselect_b64 s[0:1], -1, 0
	s_and_b64 vcc, exec, s[0:1]
	s_cbranch_vccnz .LBB3_2
; %bb.1:
	s_load_dword s0, s[22:23], 0x0
	s_waitcnt lgkmcnt(0)
	v_cmp_neq_f32_e64 s[0:1], s0, 1.0
.LBB3_2:
	s_andn2_b64 vcc, exec, s[0:1]
	s_cbranch_vccnz .LBB3_75
; %bb.3:
	v_mov_b32_e32 v1, s6
	global_load_ubyte v1, v1, s[4:5] offset:1536
	s_load_dwordx2 s[16:17], s[4:5], 0xc70
	s_load_dwordx8 s[8:15], s[4:5], 0xc50
	s_add_u32 s0, s4, s6
	s_mul_hi_u32 s1, s6, 3
	s_mul_i32 s6, s6, 3
	s_addc_u32 s2, s5, 0
	s_add_u32 s0, s0, s6
	s_addc_u32 s1, s2, s1
	s_waitcnt lgkmcnt(0)
	s_cmp_eq_u64 s[12:13], 0
	s_mov_b64 s[2:3], 0
	s_waitcnt vmcnt(0)
	v_readfirstlane_b32 s7, v1
	s_cbranch_scc1 .LBB3_76
; %bb.4:
	s_load_dword s12, s[12:13], 0x0
	s_nop 0
	s_load_dword s6, s[0:1], 0x740
	s_andn2_b64 vcc, exec, s[2:3]
	s_waitcnt lgkmcnt(0)
	v_mov_b32_e32 v16, s12
	s_cbranch_vccnz .LBB3_6
.LBB3_5:
	v_cvt_f32_f64_e32 v16, s[14:15]
.LBB3_6:
	s_load_dword s2, s[4:5], 0xc78
	v_cvt_f32_f64_e32 v17, s[8:9]
	v_cvt_f32_f64_e32 v18, s[10:11]
	;; [unrolled: 1-line block ×3, first 2 shown]
	s_waitcnt lgkmcnt(0)
	s_bitcmp1_b32 s2, 0
	s_cselect_b64 s[0:1], -1, 0
	s_bitcmp1_b32 s2, 8
	s_cselect_b64 s[18:19], -1, 0
	;; [unrolled: 2-line block ×3, first 2 shown]
	s_and_b32 s7, s7, 0xff
	s_lshl_b32 s22, s7, 3
	s_load_dwordx2 s[14:15], s[4:5], s22 offset:0x480
	s_ashr_i32 s7, s6, 31
	s_lshl_b64 s[16:17], s[6:7], 16
	s_load_dwordx2 s[8:9], s[4:5], s22 offset:0x0
	s_load_dwordx2 s[10:11], s[4:5], s22 offset:0x180
	;; [unrolled: 1-line block ×3, first 2 shown]
	s_waitcnt lgkmcnt(0)
	s_sub_u32 s22, s14, s16
	s_subb_u32 s23, s15, s17
	s_lshl_b64 s[24:25], s[6:7], 17
	s_add_u32 s33, s8, s24
	s_addc_u32 s38, s9, s25
	s_and_b32 s6, s33, 7
	s_add_u32 s36, s10, s24
	s_addc_u32 s39, s11, s25
	s_and_b32 s16, s36, 7
	s_mov_b32 s7, 0
	s_add_u32 s37, s12, s24
	s_addc_u32 s40, s13, s25
	s_and_b32 s26, s37, 7
	s_mov_b32 s27, s7
	s_and_b32 s14, s14, 3
	s_mov_b32 s15, s7
	s_mov_b32 s17, s7
	s_or_b64 s[14:15], s[14:15], s[26:27]
	s_or_b64 s[14:15], s[14:15], s[16:17]
	;; [unrolled: 1-line block ×3, first 2 shown]
	s_cmp_eq_u64 s[6:7], 0
	s_mov_b64 s[6:7], -1
	s_cbranch_scc1 .LBB3_61
; %bb.7:
	v_cmp_lt_i64_e64 s[6:7], s[22:23], 1
	s_and_b64 vcc, exec, s[6:7]
	s_cbranch_vccnz .LBB3_60
; %bb.8:
	v_mov_b32_e32 v1, 0x10000
	s_load_dword s14, s[4:5], 0xc9c
	v_mov_b32_e32 v2, 0
	v_cmp_lt_i64_e32 vcc, s[22:23], v[1:2]
	v_mov_b32_e32 v2, 0
	s_and_b64 s[6:7], vcc, exec
	s_cselect_b32 s27, s23, 0
	s_cselect_b32 s26, s22, 0x10000
	s_waitcnt lgkmcnt(0)
	s_and_b32 s14, s14, 0xffff
	v_lshlrev_b32_e32 v1, 1, v0
	v_mad_u64_u32 v[2:3], s[6:7], s14, 6, v[1:2]
	v_mov_b32_e32 v9, s9
	v_mov_b32_e32 v11, s11
	v_add_co_u32_e32 v8, vcc, s8, v2
	v_addc_co_u32_e32 v9, vcc, v9, v3, vcc
	v_add_co_u32_e32 v10, vcc, s10, v2
	s_lshl_b32 s16, s14, 1
	v_addc_co_u32_e32 v11, vcc, v11, v3, vcc
	s_cmp_lg_u64 s[20:21], 0
	v_mov_b32_e32 v13, s13
	v_add_co_u32_e32 v12, vcc, s12, v2
	s_cselect_b64 s[28:29], -1, 0
	s_lshl_b32 s41, s14, 2
	v_addc_co_u32_e32 v13, vcc, v13, v3, vcc
	v_add_co_u32_e32 v2, vcc, s41, v1
	v_addc_co_u32_e64 v3, s[6:7], 0, 0, vcc
	v_mov_b32_e32 v15, s9
	v_add_co_u32_e32 v14, vcc, s8, v2
	v_addc_co_u32_e32 v15, vcc, v15, v3, vcc
	v_mov_b32_e32 v20, s11
	v_add_co_u32_e32 v19, vcc, s10, v2
	v_addc_co_u32_e32 v20, vcc, v20, v3, vcc
	;; [unrolled: 3-line block ×6, first 2 shown]
	v_add_co_u32_e32 v29, vcc, s14, v0
	v_lshlrev_b32_e32 v1, 1, v29
	s_mul_i32 s17, s14, 3
	s_lshl_b32 s43, s14, 3
	v_addc_co_u32_e64 v30, s[14:15], 0, 0, vcc
	v_mov_b32_e32 v2, s9
	v_add_co_u32_e32 v31, vcc, s8, v1
	v_addc_co_u32_e32 v32, vcc, 0, v2, vcc
	v_mov_b32_e32 v2, s11
	v_add_co_u32_e32 v33, vcc, s10, v1
	v_addc_co_u32_e32 v34, vcc, 0, v2, vcc
	;; [unrolled: 3-line block ×3, first 2 shown]
	v_add_co_u32_e32 v38, vcc, s17, v0
	v_addc_co_u32_e64 v39, s[8:9], 0, 0, vcc
	v_add_co_u32_e32 v40, vcc, s16, v0
	s_mov_b32 s42, 0
	s_mov_b64 s[30:31], 0
	v_cmp_neq_f32_e64 s[6:7], 0, v17
	s_movk_i32 s44, 0x7fff
	v_sub_f32_e32 v37, 1.0, v7
	v_addc_co_u32_e64 v41, s[8:9], 0, 0, vcc
	v_mov_b32_e32 v42, 0x7fc0
	v_mov_b32_e32 v43, 0x7fc00000
	s_branch .LBB3_10
.LBB3_9:                                ;   in Loop: Header=BB3_10 Depth=1
	s_or_b64 exec, exec, s[8:9]
	v_add_co_u32_e32 v23, vcc, s43, v23
	v_addc_co_u32_e32 v24, vcc, 0, v24, vcc
	v_add_co_u32_e32 v25, vcc, s43, v25
	v_addc_co_u32_e32 v26, vcc, 0, v26, vcc
	;; [unrolled: 2-line block ×10, first 2 shown]
	s_add_u32 s30, s30, s41
	v_add_co_u32_e32 v33, vcc, s43, v33
	v_mov_b32_e32 v1, s26
	s_addc_u32 s31, s31, 0
	v_addc_co_u32_e32 v34, vcc, 0, v34, vcc
	v_mov_b32_e32 v2, s27
	v_cmp_lt_i64_e32 vcc, s[30:31], v[1:2]
	v_add_co_u32_e64 v35, s[8:9], s43, v35
	v_addc_co_u32_e64 v36, s[8:9], 0, v36, s[8:9]
	s_cbranch_vccz .LBB3_60
.LBB3_10:                               ; =>This Inner Loop Header: Depth=1
	v_mov_b32_e32 v2, s31
	v_add_co_u32_e32 v1, vcc, s30, v0
	v_addc_co_u32_e32 v2, vcc, 0, v2, vcc
	v_cmp_gt_i64_e64 s[8:9], s[26:27], v[1:2]
	v_mov_b32_e32 v3, 0
	v_mov_b32_e32 v1, 0
	;; [unrolled: 1-line block ×6, first 2 shown]
	s_and_saveexec_b64 s[10:11], s[8:9]
	s_cbranch_execz .LBB3_12
; %bb.11:                               ;   in Loop: Header=BB3_10 Depth=1
	v_mov_b32_e32 v6, s25
	v_add_co_u32_e32 v1, vcc, s24, v25
	v_addc_co_u32_e32 v2, vcc, v26, v6, vcc
	v_add_co_u32_e32 v5, vcc, s24, v23
	v_addc_co_u32_e32 v6, vcc, v24, v6, vcc
	global_load_ushort v44, v[5:6], off
	global_load_ushort v45, v[1:2], off
	v_mov_b32_e32 v6, s42
	v_mov_b32_e32 v2, s42
	s_waitcnt vmcnt(1)
	v_and_b32_e32 v5, 0xffff, v44
	s_waitcnt vmcnt(0)
	v_and_b32_e32 v1, 0xffff, v45
.LBB3_12:                               ;   in Loop: Header=BB3_10 Depth=1
	s_or_b64 exec, exec, s[10:11]
	s_and_saveexec_b64 s[10:11], s[8:9]
	s_cbranch_execz .LBB3_14
; %bb.13:                               ;   in Loop: Header=BB3_10 Depth=1
	v_mov_b32_e32 v4, s25
	v_add_co_u32_e32 v3, vcc, s24, v27
	v_addc_co_u32_e32 v4, vcc, v28, v4, vcc
	global_load_ushort v3, v[3:4], off
	v_mov_b32_e32 v4, s42
	s_waitcnt vmcnt(0)
	v_and_b32_e32 v3, 0xffff, v3
.LBB3_14:                               ;   in Loop: Header=BB3_10 Depth=1
	s_or_b64 exec, exec, s[10:11]
	v_mov_b32_e32 v45, s31
	v_add_co_u32_e32 v44, vcc, s30, v29
	v_addc_co_u32_e32 v45, vcc, v30, v45, vcc
	v_cmp_gt_i64_e64 s[10:11], s[26:27], v[44:45]
	s_and_saveexec_b64 s[12:13], s[10:11]
	s_cbranch_execz .LBB3_16
; %bb.15:                               ;   in Loop: Header=BB3_10 Depth=1
	v_mov_b32_e32 v46, s25
	v_add_co_u32_e32 v44, vcc, s24, v31
	v_addc_co_u32_e32 v45, vcc, v32, v46, vcc
	global_load_ushort v47, v[44:45], off
	v_add_co_u32_e32 v44, vcc, s24, v33
	v_addc_co_u32_e32 v45, vcc, v34, v46, vcc
	global_load_ushort v44, v[44:45], off
	s_waitcnt vmcnt(1)
	v_lshl_or_b32 v5, v47, 16, v5
	s_waitcnt vmcnt(0)
	v_lshl_or_b32 v1, v44, 16, v1
.LBB3_16:                               ;   in Loop: Header=BB3_10 Depth=1
	s_or_b64 exec, exec, s[12:13]
	s_and_saveexec_b64 s[12:13], s[10:11]
	s_cbranch_execz .LBB3_18
; %bb.17:                               ;   in Loop: Header=BB3_10 Depth=1
	v_mov_b32_e32 v45, s25
	v_add_co_u32_e32 v44, vcc, s24, v35
	v_addc_co_u32_e32 v45, vcc, v36, v45, vcc
	global_load_ushort v44, v[44:45], off
	s_waitcnt vmcnt(0)
	v_lshl_or_b32 v3, v44, 16, v3
.LBB3_18:                               ;   in Loop: Header=BB3_10 Depth=1
	s_or_b64 exec, exec, s[12:13]
	v_mov_b32_e32 v45, s31
	v_add_co_u32_e32 v44, vcc, s30, v40
	v_addc_co_u32_e32 v45, vcc, v41, v45, vcc
	v_cmp_gt_i64_e64 s[12:13], s[26:27], v[44:45]
	v_cmp_le_i64_e32 vcc, s[26:27], v[44:45]
	s_and_saveexec_b64 s[14:15], vcc
	s_xor_b64 s[14:15], exec, s[14:15]
	s_andn2_saveexec_b64 s[14:15], s[14:15]
	s_cbranch_execz .LBB3_20
; %bb.19:                               ;   in Loop: Header=BB3_10 Depth=1
	v_mov_b32_e32 v46, s25
	v_add_co_u32_e32 v44, vcc, s24, v14
	v_addc_co_u32_e32 v45, vcc, v15, v46, vcc
	global_load_ushort v47, v[44:45], off
	v_add_co_u32_e32 v44, vcc, s24, v19
	v_addc_co_u32_e32 v45, vcc, v20, v46, vcc
	global_load_ushort v44, v[44:45], off
	s_waitcnt vmcnt(1)
	v_or_b32_e32 v6, v47, v6
	s_waitcnt vmcnt(0)
	v_or_b32_e32 v2, v44, v2
.LBB3_20:                               ;   in Loop: Header=BB3_10 Depth=1
	s_or_b64 exec, exec, s[14:15]
	s_and_saveexec_b64 s[14:15], s[12:13]
	s_cbranch_execz .LBB3_22
; %bb.21:                               ;   in Loop: Header=BB3_10 Depth=1
	v_mov_b32_e32 v45, s25
	v_add_co_u32_e32 v44, vcc, s24, v21
	v_addc_co_u32_e32 v45, vcc, v22, v45, vcc
	global_load_ushort v44, v[44:45], off
	s_waitcnt vmcnt(0)
	v_or_b32_e32 v4, v44, v4
.LBB3_22:                               ;   in Loop: Header=BB3_10 Depth=1
	s_or_b64 exec, exec, s[14:15]
	v_mov_b32_e32 v45, s31
	v_add_co_u32_e32 v44, vcc, s30, v38
	v_addc_co_u32_e32 v45, vcc, v39, v45, vcc
	v_cmp_gt_i64_e64 s[14:15], s[26:27], v[44:45]
	s_and_saveexec_b64 s[16:17], s[14:15]
	s_cbranch_execz .LBB3_24
; %bb.23:                               ;   in Loop: Header=BB3_10 Depth=1
	v_mov_b32_e32 v46, s25
	v_add_co_u32_e32 v44, vcc, s24, v8
	v_addc_co_u32_e32 v45, vcc, v9, v46, vcc
	global_load_ushort v47, v[44:45], off
	v_add_co_u32_e32 v44, vcc, s24, v10
	v_addc_co_u32_e32 v45, vcc, v11, v46, vcc
	global_load_ushort v44, v[44:45], off
	v_add_co_u32_e32 v1, vcc, 0, v1
	s_waitcnt vmcnt(1)
	v_lshlrev_b32_e32 v45, 16, v47
	v_or_b32_e32 v6, v45, v6
	s_waitcnt vmcnt(0)
	v_lshlrev_b32_e32 v44, 16, v44
	v_addc_co_u32_e32 v2, vcc, v44, v2, vcc
.LBB3_24:                               ;   in Loop: Header=BB3_10 Depth=1
	s_or_b64 exec, exec, s[16:17]
	s_and_saveexec_b64 s[16:17], s[14:15]
	s_cbranch_execz .LBB3_26
; %bb.25:                               ;   in Loop: Header=BB3_10 Depth=1
	v_mov_b32_e32 v45, s25
	v_add_co_u32_e32 v44, vcc, s24, v12
	v_addc_co_u32_e32 v45, vcc, v13, v45, vcc
	global_load_ushort v44, v[44:45], off
	s_waitcnt vmcnt(0)
	v_lshlrev_b32_e32 v44, 16, v44
	v_or_b32_e32 v4, v44, v4
.LBB3_26:                               ;   in Loop: Header=BB3_10 Depth=1
	s_or_b64 exec, exec, s[16:17]
	v_cndmask_b32_e64 v44, 0, 1, s[28:29]
	v_cmp_ne_u32_e64 s[16:17], 1, v44
	s_andn2_b64 vcc, exec, s[28:29]
	v_lshlrev_b32_e32 v44, 16, v1
	s_cbranch_vccnz .LBB3_28
; %bb.27:                               ;   in Loop: Header=BB3_10 Depth=1
	s_load_dword s45, s[20:21], 0x0
	v_and_b32_e32 v1, 0xffff0000, v1
	s_waitcnt lgkmcnt(0)
	v_div_scale_f32 v45, s[34:35], s45, s45, v44
	v_div_scale_f32 v46, vcc, v44, s45, v44
	v_rcp_f32_e32 v47, v45
	v_fma_f32 v48, -v45, v47, 1.0
	v_fmac_f32_e32 v47, v48, v47
	v_mul_f32_e32 v48, v46, v47
	v_fma_f32 v49, -v45, v48, v46
	v_fmac_f32_e32 v48, v49, v47
	v_fma_f32 v45, -v45, v48, v46
	v_div_fmas_f32 v45, v45, v47, v48
	v_div_fixup_f32 v44, v45, s45, v44
	v_bfe_u32 v45, v44, 16, 1
	v_cmp_o_f32_e32 vcc, v44, v44
	v_add3_u32 v45, v44, v45, s44
	v_cndmask_b32_sdwa v45, v42, v45, vcc dst_sel:DWORD dst_unused:UNUSED_PAD src0_sel:DWORD src1_sel:WORD_1
	v_or_b32_e32 v1, v45, v1
.LBB3_28:                               ;   in Loop: Header=BB3_10 Depth=1
	s_and_b64 vcc, exec, s[16:17]
	v_and_b32_e32 v45, 0xffff0000, v1
	s_cbranch_vccnz .LBB3_30
; %bb.29:                               ;   in Loop: Header=BB3_10 Depth=1
	s_load_dword s45, s[20:21], 0x0
	s_waitcnt lgkmcnt(0)
	v_div_scale_f32 v46, s[34:35], s45, s45, v45
	v_div_scale_f32 v47, vcc, v45, s45, v45
	v_rcp_f32_e32 v48, v46
	v_fma_f32 v49, -v46, v48, 1.0
	v_fmac_f32_e32 v48, v49, v48
	v_mul_f32_e32 v49, v47, v48
	v_fma_f32 v50, -v46, v49, v47
	v_fmac_f32_e32 v49, v50, v48
	v_fma_f32 v46, -v46, v49, v47
	v_div_fmas_f32 v46, v46, v48, v49
	v_div_fixup_f32 v45, v46, s45, v45
	v_bfe_u32 v46, v45, 16, 1
	v_add3_u32 v46, v45, v46, s44
	v_and_b32_e32 v46, 0xffff0000, v46
	v_cmp_o_f32_e32 vcc, v45, v45
	v_cndmask_b32_e32 v46, v43, v46, vcc
	v_or_b32_sdwa v1, v46, v1 dst_sel:DWORD dst_unused:UNUSED_PAD src0_sel:DWORD src1_sel:WORD_0
.LBB3_30:                               ;   in Loop: Header=BB3_10 Depth=1
	v_alignbit_b32 v46, v2, v1, 16
	s_and_b64 vcc, exec, s[16:17]
	v_and_b32_e32 v46, 0xffff0000, v46
	s_cbranch_vccnz .LBB3_32
; %bb.31:                               ;   in Loop: Header=BB3_10 Depth=1
	s_load_dword s45, s[20:21], 0x0
	v_and_b32_e32 v2, 0xffff0000, v2
	s_waitcnt lgkmcnt(0)
	v_div_scale_f32 v47, s[34:35], s45, s45, v46
	v_div_scale_f32 v48, vcc, v46, s45, v46
	v_rcp_f32_e32 v49, v47
	v_fma_f32 v50, -v47, v49, 1.0
	v_fmac_f32_e32 v49, v50, v49
	v_mul_f32_e32 v50, v48, v49
	v_fma_f32 v51, -v47, v50, v48
	v_fmac_f32_e32 v50, v51, v49
	v_fma_f32 v47, -v47, v50, v48
	v_div_fmas_f32 v47, v47, v49, v50
	v_div_fixup_f32 v46, v47, s45, v46
	v_bfe_u32 v47, v46, 16, 1
	v_cmp_o_f32_e32 vcc, v46, v46
	v_add3_u32 v47, v46, v47, s44
	v_cndmask_b32_sdwa v47, v42, v47, vcc dst_sel:DWORD dst_unused:UNUSED_PAD src0_sel:DWORD src1_sel:WORD_1
	v_or_b32_e32 v2, v47, v2
.LBB3_32:                               ;   in Loop: Header=BB3_10 Depth=1
	s_and_b64 vcc, exec, s[16:17]
	v_and_b32_e32 v47, 0xffff0000, v2
	s_cbranch_vccnz .LBB3_34
; %bb.33:                               ;   in Loop: Header=BB3_10 Depth=1
	s_load_dword s45, s[20:21], 0x0
	s_waitcnt lgkmcnt(0)
	v_div_scale_f32 v48, s[34:35], s45, s45, v47
	v_div_scale_f32 v49, vcc, v47, s45, v47
	v_rcp_f32_e32 v50, v48
	v_fma_f32 v51, -v48, v50, 1.0
	v_fmac_f32_e32 v50, v51, v50
	v_mul_f32_e32 v51, v49, v50
	v_fma_f32 v52, -v48, v51, v49
	v_fmac_f32_e32 v51, v52, v50
	v_fma_f32 v48, -v48, v51, v49
	v_div_fmas_f32 v48, v48, v50, v51
	v_div_fixup_f32 v47, v48, s45, v47
	v_bfe_u32 v48, v47, 16, 1
	v_add3_u32 v48, v47, v48, s44
	v_and_b32_e32 v48, 0xffff0000, v48
	v_cmp_o_f32_e32 vcc, v47, v47
	v_cndmask_b32_e32 v48, v43, v48, vcc
	v_or_b32_sdwa v2, v48, v2 dst_sel:DWORD dst_unused:UNUSED_PAD src0_sel:DWORD src1_sel:WORD_0
.LBB3_34:                               ;   in Loop: Header=BB3_10 Depth=1
	v_lshlrev_b32_e32 v48, 16, v5
	v_cndmask_b32_e64 v44, v44, -v44, s[18:19]
	v_fma_f32 v49, v17, v48, v44
	v_cndmask_b32_e64 v49, v44, v49, s[6:7]
	v_lshlrev_b32_e32 v44, 16, v3
	v_mul_f32_e32 v50, v37, v49
	v_fmac_f32_e32 v50, v18, v44
	v_cndmask_b32_e64 v44, v50, v49, s[2:3]
	s_and_saveexec_b64 s[34:35], s[8:9]
	s_cbranch_execz .LBB3_36
; %bb.35:                               ;   in Loop: Header=BB3_10 Depth=1
	v_fmac_f32_e32 v49, v44, v18
	v_cndmask_b32_e64 v49, v44, v49, s[0:1]
	v_fma_f32 v48, -v16, v49, v48
	v_bfe_u32 v49, v48, 16, 1
	v_add3_u32 v49, v48, v49, s44
	v_cmp_o_f32_e32 vcc, v48, v48
	v_cndmask_b32_sdwa v50, v42, v49, vcc dst_sel:DWORD dst_unused:UNUSED_PAD src0_sel:DWORD src1_sel:WORD_1
	v_mov_b32_e32 v49, s25
	v_add_co_u32_e32 v48, vcc, s24, v23
	v_addc_co_u32_e32 v49, vcc, v24, v49, vcc
	global_store_short v[48:49], v50, off
.LBB3_36:                               ;   in Loop: Header=BB3_10 Depth=1
	s_or_b64 exec, exec, s[34:35]
	v_and_b32_e32 v48, 0xffff0000, v5
	v_cndmask_b32_e64 v45, v45, -v45, s[18:19]
	v_fma_f32 v49, v17, v48, v45
	v_cndmask_b32_e64 v49, v45, v49, s[6:7]
	v_and_b32_e32 v45, 0xffff0000, v3
	v_mul_f32_e32 v50, v37, v49
	v_fmac_f32_e32 v50, v18, v45
	v_cndmask_b32_e64 v45, v50, v49, s[2:3]
	s_and_saveexec_b64 s[34:35], s[10:11]
	s_cbranch_execz .LBB3_38
; %bb.37:                               ;   in Loop: Header=BB3_10 Depth=1
	v_fmac_f32_e32 v49, v45, v18
	v_cndmask_b32_e64 v49, v45, v49, s[0:1]
	v_fma_f32 v48, -v16, v49, v48
	v_bfe_u32 v49, v48, 16, 1
	v_add3_u32 v49, v48, v49, s44
	v_cmp_o_f32_e32 vcc, v48, v48
	v_cndmask_b32_sdwa v50, v42, v49, vcc dst_sel:DWORD dst_unused:UNUSED_PAD src0_sel:DWORD src1_sel:WORD_1
	v_mov_b32_e32 v49, s25
	v_add_co_u32_e32 v48, vcc, s24, v31
	v_addc_co_u32_e32 v49, vcc, v32, v49, vcc
	global_store_short v[48:49], v50, off
.LBB3_38:                               ;   in Loop: Header=BB3_10 Depth=1
	s_or_b64 exec, exec, s[34:35]
	v_alignbit_b32 v5, v6, v5, 16
	v_and_b32_e32 v5, 0xffff0000, v5
	v_cndmask_b32_e64 v46, v46, -v46, s[18:19]
	v_fma_f32 v48, v17, v5, v46
	v_cndmask_b32_e64 v46, v46, v48, s[6:7]
	v_alignbit_b32 v3, v4, v3, 16
	v_and_b32_e32 v3, 0xffff0000, v3
	v_mul_f32_e32 v48, v37, v46
	v_fmac_f32_e32 v48, v18, v3
	v_cndmask_b32_e64 v3, v48, v46, s[2:3]
	s_and_saveexec_b64 s[34:35], s[12:13]
	s_cbranch_execz .LBB3_40
; %bb.39:                               ;   in Loop: Header=BB3_10 Depth=1
	v_fmac_f32_e32 v46, v3, v18
	v_cndmask_b32_e64 v46, v3, v46, s[0:1]
	v_fma_f32 v5, -v16, v46, v5
	v_bfe_u32 v46, v5, 16, 1
	v_add3_u32 v46, v5, v46, s44
	v_cmp_o_f32_e32 vcc, v5, v5
	v_cndmask_b32_sdwa v5, v42, v46, vcc dst_sel:DWORD dst_unused:UNUSED_PAD src0_sel:DWORD src1_sel:WORD_1
	v_mov_b32_e32 v46, s25
	v_add_co_u32_e32 v48, vcc, s24, v14
	v_addc_co_u32_e32 v49, vcc, v15, v46, vcc
	global_store_short v[48:49], v5, off
.LBB3_40:                               ;   in Loop: Header=BB3_10 Depth=1
	s_or_b64 exec, exec, s[34:35]
	v_and_b32_e32 v5, 0xffff0000, v6
	v_cndmask_b32_e64 v6, v47, -v47, s[18:19]
	v_fma_f32 v46, v17, v5, v6
	v_cndmask_b32_e64 v6, v6, v46, s[6:7]
	v_and_b32_e32 v4, 0xffff0000, v4
	v_mul_f32_e32 v46, v37, v6
	v_fmac_f32_e32 v46, v18, v4
	v_cndmask_b32_e64 v4, v46, v6, s[2:3]
	s_and_saveexec_b64 s[34:35], s[14:15]
	s_cbranch_execz .LBB3_42
; %bb.41:                               ;   in Loop: Header=BB3_10 Depth=1
	v_fmac_f32_e32 v6, v4, v18
	v_cndmask_b32_e64 v6, v4, v6, s[0:1]
	v_fma_f32 v5, -v16, v6, v5
	v_bfe_u32 v6, v5, 16, 1
	v_add3_u32 v6, v5, v6, s44
	v_cmp_o_f32_e32 vcc, v5, v5
	v_cndmask_b32_sdwa v46, v42, v6, vcc dst_sel:DWORD dst_unused:UNUSED_PAD src0_sel:DWORD src1_sel:WORD_1
	v_mov_b32_e32 v6, s25
	v_add_co_u32_e32 v5, vcc, s24, v8
	v_addc_co_u32_e32 v6, vcc, v9, v6, vcc
	global_store_short v[5:6], v46, off
.LBB3_42:                               ;   in Loop: Header=BB3_10 Depth=1
	s_or_b64 exec, exec, s[34:35]
	s_and_b64 vcc, exec, s[16:17]
	s_cbranch_vccnz .LBB3_49
; %bb.43:                               ;   in Loop: Header=BB3_10 Depth=1
	s_and_saveexec_b64 s[16:17], s[8:9]
	s_cbranch_execnz .LBB3_57
; %bb.44:                               ;   in Loop: Header=BB3_10 Depth=1
	s_or_b64 exec, exec, s[16:17]
	s_and_saveexec_b64 s[16:17], s[10:11]
	s_cbranch_execnz .LBB3_58
.LBB3_45:                               ;   in Loop: Header=BB3_10 Depth=1
	s_or_b64 exec, exec, s[16:17]
	s_and_saveexec_b64 s[16:17], s[12:13]
	s_cbranch_execnz .LBB3_59
.LBB3_46:                               ;   in Loop: Header=BB3_10 Depth=1
	s_or_b64 exec, exec, s[16:17]
	s_and_saveexec_b64 s[16:17], s[14:15]
	s_cbranch_execz .LBB3_48
.LBB3_47:                               ;   in Loop: Header=BB3_10 Depth=1
	v_mov_b32_e32 v1, s25
	v_add_co_u32_e32 v5, vcc, s24, v10
	v_addc_co_u32_e32 v6, vcc, v11, v1, vcc
	global_store_short_d16_hi v[5:6], v2, off
.LBB3_48:                               ;   in Loop: Header=BB3_10 Depth=1
	s_or_b64 exec, exec, s[16:17]
.LBB3_49:                               ;   in Loop: Header=BB3_10 Depth=1
	s_and_saveexec_b64 s[16:17], s[8:9]
	s_cbranch_execnz .LBB3_53
; %bb.50:                               ;   in Loop: Header=BB3_10 Depth=1
	s_or_b64 exec, exec, s[16:17]
	s_and_saveexec_b64 s[8:9], s[10:11]
	s_cbranch_execnz .LBB3_54
.LBB3_51:                               ;   in Loop: Header=BB3_10 Depth=1
	s_or_b64 exec, exec, s[8:9]
	s_and_saveexec_b64 s[8:9], s[12:13]
	s_cbranch_execnz .LBB3_55
.LBB3_52:                               ;   in Loop: Header=BB3_10 Depth=1
	s_or_b64 exec, exec, s[8:9]
	s_and_saveexec_b64 s[8:9], s[14:15]
	s_cbranch_execz .LBB3_9
	s_branch .LBB3_56
.LBB3_53:                               ;   in Loop: Header=BB3_10 Depth=1
	v_bfe_u32 v1, v44, 16, 1
	v_add3_u32 v1, v44, v1, s44
	v_cmp_o_f32_e32 vcc, v44, v44
	v_cndmask_b32_sdwa v5, v42, v1, vcc dst_sel:DWORD dst_unused:UNUSED_PAD src0_sel:DWORD src1_sel:WORD_1
	v_mov_b32_e32 v2, s25
	v_add_co_u32_e32 v1, vcc, s24, v27
	v_addc_co_u32_e32 v2, vcc, v28, v2, vcc
	global_store_short v[1:2], v5, off
	s_or_b64 exec, exec, s[16:17]
	s_and_saveexec_b64 s[8:9], s[10:11]
	s_cbranch_execz .LBB3_51
.LBB3_54:                               ;   in Loop: Header=BB3_10 Depth=1
	v_bfe_u32 v1, v45, 16, 1
	v_add3_u32 v1, v45, v1, s44
	v_cmp_o_f32_e32 vcc, v45, v45
	v_cndmask_b32_sdwa v5, v42, v1, vcc dst_sel:DWORD dst_unused:UNUSED_PAD src0_sel:DWORD src1_sel:WORD_1
	v_mov_b32_e32 v2, s25
	v_add_co_u32_e32 v1, vcc, s24, v35
	v_addc_co_u32_e32 v2, vcc, v36, v2, vcc
	global_store_short v[1:2], v5, off
	s_or_b64 exec, exec, s[8:9]
	s_and_saveexec_b64 s[8:9], s[12:13]
	s_cbranch_execz .LBB3_52
.LBB3_55:                               ;   in Loop: Header=BB3_10 Depth=1
	v_bfe_u32 v1, v3, 16, 1
	v_add3_u32 v1, v3, v1, s44
	v_cmp_o_f32_e32 vcc, v3, v3
	v_cndmask_b32_sdwa v3, v42, v1, vcc dst_sel:DWORD dst_unused:UNUSED_PAD src0_sel:DWORD src1_sel:WORD_1
	v_mov_b32_e32 v2, s25
	v_add_co_u32_e32 v1, vcc, s24, v21
	v_addc_co_u32_e32 v2, vcc, v22, v2, vcc
	global_store_short v[1:2], v3, off
	s_or_b64 exec, exec, s[8:9]
	s_and_saveexec_b64 s[8:9], s[14:15]
	s_cbranch_execz .LBB3_9
.LBB3_56:                               ;   in Loop: Header=BB3_10 Depth=1
	v_bfe_u32 v1, v4, 16, 1
	v_add3_u32 v1, v4, v1, s44
	v_cmp_o_f32_e32 vcc, v4, v4
	v_cndmask_b32_sdwa v3, v42, v1, vcc dst_sel:DWORD dst_unused:UNUSED_PAD src0_sel:DWORD src1_sel:WORD_1
	v_mov_b32_e32 v2, s25
	v_add_co_u32_e32 v1, vcc, s24, v12
	v_addc_co_u32_e32 v2, vcc, v13, v2, vcc
	global_store_short v[1:2], v3, off
	s_branch .LBB3_9
.LBB3_57:                               ;   in Loop: Header=BB3_10 Depth=1
	v_mov_b32_e32 v6, s25
	v_add_co_u32_e32 v5, vcc, s24, v25
	v_addc_co_u32_e32 v6, vcc, v26, v6, vcc
	global_store_short v[5:6], v1, off
	s_or_b64 exec, exec, s[16:17]
	s_and_saveexec_b64 s[16:17], s[10:11]
	s_cbranch_execz .LBB3_45
.LBB3_58:                               ;   in Loop: Header=BB3_10 Depth=1
	v_mov_b32_e32 v6, s25
	v_add_co_u32_e32 v5, vcc, s24, v33
	v_addc_co_u32_e32 v6, vcc, v34, v6, vcc
	global_store_short_d16_hi v[5:6], v1, off
	s_or_b64 exec, exec, s[16:17]
	s_and_saveexec_b64 s[16:17], s[12:13]
	s_cbranch_execz .LBB3_46
.LBB3_59:                               ;   in Loop: Header=BB3_10 Depth=1
	v_mov_b32_e32 v1, s25
	v_add_co_u32_e32 v5, vcc, s24, v19
	v_addc_co_u32_e32 v6, vcc, v20, v1, vcc
	global_store_short v[5:6], v2, off
	s_or_b64 exec, exec, s[16:17]
	s_and_saveexec_b64 s[16:17], s[14:15]
	s_cbranch_execnz .LBB3_47
	s_branch .LBB3_48
.LBB3_60:
	s_mov_b64 s[6:7], 0
.LBB3_61:
	s_andn2_b64 vcc, exec, s[6:7]
	s_cbranch_vccnz .LBB3_75
; %bb.62:
	v_mov_b32_e32 v3, 0
	v_lshlrev_b32_e32 v2, 2, v0
	v_cmp_gt_i64_e32 vcc, s[22:23], v[2:3]
	s_and_saveexec_b64 s[6:7], vcc
	s_cbranch_execz .LBB3_75
; %bb.63:
	s_load_dword s8, s[4:5], 0xc9c
	s_cmp_lg_u64 s[20:21], 0
	s_cselect_b64 s[6:7], -1, 0
	v_cndmask_b32_e64 v4, 0, 1, s[6:7]
	v_cmp_ne_u32_e64 s[6:7], 1, v4
	s_waitcnt lgkmcnt(0)
	s_and_b32 s12, s8, 0xffff
	v_add_lshl_u32 v2, v0, s12, 2
	v_mov_b32_e32 v5, v3
	v_mov_b32_e32 v1, v3
	s_mov_b64 s[10:11], 0
	v_cmp_neq_f32_e64 s[4:5], 0, v17
	v_sub_f32_e32 v19, 1.0, v7
	v_add_u32_e32 v20, s12, v0
	s_lshl_b32 s13, s12, 2
	v_mov_b32_e32 v21, s38
	v_mov_b32_e32 v22, s39
	;; [unrolled: 1-line block ×3, first 2 shown]
	s_movk_i32 s14, 0x7fff
	s_movk_i32 s15, 0x3fff
	v_mov_b32_e32 v24, 0x7fc0
	v_mov_b32_e32 v25, 0x7fc00000
	;; [unrolled: 1-line block ×4, first 2 shown]
	s_branch .LBB3_65
.LBB3_64:                               ;   in Loop: Header=BB3_65 Depth=1
	v_bfe_u32 v6, v26, 16, 1
	v_bfe_u32 v7, v27, 16, 1
	v_add3_u32 v6, v26, v6, s14
	v_cmp_o_f32_e32 vcc, v26, v26
	v_add3_u32 v7, v27, v7, s14
	v_cndmask_b32_sdwa v6, v24, v6, vcc dst_sel:DWORD dst_unused:UNUSED_PAD src0_sel:DWORD src1_sel:WORD_1
	v_and_b32_e32 v7, 0xffff0000, v7
	v_cmp_o_f32_e32 vcc, v27, v27
	v_cndmask_b32_e32 v7, v25, v7, vcc
	v_or_b32_e32 v6, v7, v6
	v_bfe_u32 v7, v12, 16, 1
	v_add3_u32 v7, v12, v7, s14
	v_bfe_u32 v8, v13, 16, 1
	v_lshrrev_b32_e32 v7, 16, v7
	v_cmp_o_f32_e32 vcc, v12, v12
	v_add3_u32 v8, v13, v8, s14
	v_cndmask_b32_e32 v7, v24, v7, vcc
	v_and_b32_e32 v8, 0xffff0000, v8
	v_cmp_o_f32_e32 vcc, v13, v13
	v_cndmask_b32_e32 v8, v25, v8, vcc
	v_cmp_le_u64_e32 vcc, s[22:23], v[4:5]
	v_cmp_lt_u32_e64 s[8:9], s15, v20
	v_or3_b32 v7, 0, v7, v8
	v_or3_b32 v6, v6, 0, 0
	v_add_u32_e32 v2, s12, v2
	s_or_b64 s[8:9], vcc, s[8:9]
	global_store_dwordx2 v[0:1], v[6:7], off
	v_add_co_u32_e32 v4, vcc, s13, v4
	s_and_b64 s[8:9], exec, s[8:9]
	v_mov_b32_e32 v0, v2
	v_add_u32_e32 v20, s12, v20
	v_addc_co_u32_e32 v5, vcc, 0, v5, vcc
	s_or_b64 s[10:11], s[8:9], s[10:11]
	v_mov_b32_e32 v1, v3
	s_andn2_b64 exec, exec, s[10:11]
	s_cbranch_execz .LBB3_75
.LBB3_65:                               ; =>This Inner Loop Header: Depth=1
	v_lshlrev_b64 v[0:1], 3, v[0:1]
	v_add_co_u32_e32 v6, vcc, s33, v0
	v_addc_co_u32_e32 v7, vcc, v21, v1, vcc
	v_add_co_u32_e32 v8, vcc, s36, v0
	v_addc_co_u32_e32 v9, vcc, v22, v1, vcc
	v_add_co_u32_e32 v0, vcc, s37, v0
	global_load_dwordx2 v[10:11], v[8:9], off
	v_addc_co_u32_e32 v1, vcc, v23, v1, vcc
	global_load_dwordx2 v[12:13], v[6:7], off
	global_load_dwordx2 v[14:15], v[0:1], off
	s_and_b64 vcc, exec, s[6:7]
	s_waitcnt vmcnt(2)
	v_lshlrev_b32_e32 v26, 16, v10
	s_cbranch_vccnz .LBB3_67
; %bb.66:                               ;   in Loop: Header=BB3_65 Depth=1
	global_load_dword v27, v3, s[20:21]
	v_and_b32_e32 v10, 0xffff0000, v10
	s_waitcnt vmcnt(0)
	v_div_scale_f32 v28, s[8:9], v27, v27, v26
	v_div_scale_f32 v29, vcc, v26, v27, v26
	v_rcp_f32_e32 v30, v28
	v_fma_f32 v31, -v28, v30, 1.0
	v_fmac_f32_e32 v30, v31, v30
	v_mul_f32_e32 v31, v29, v30
	v_fma_f32 v32, -v28, v31, v29
	v_fmac_f32_e32 v31, v32, v30
	v_fma_f32 v28, -v28, v31, v29
	v_div_fmas_f32 v28, v28, v30, v31
	v_div_fixup_f32 v26, v28, v27, v26
	v_bfe_u32 v27, v26, 16, 1
	v_cmp_o_f32_e32 vcc, v26, v26
	v_add3_u32 v27, v26, v27, s14
	v_cndmask_b32_sdwa v27, v24, v27, vcc dst_sel:DWORD dst_unused:UNUSED_PAD src0_sel:DWORD src1_sel:WORD_1
	v_or_b32_e32 v10, v27, v10
.LBB3_67:                               ;   in Loop: Header=BB3_65 Depth=1
	s_and_b64 vcc, exec, s[6:7]
	v_and_b32_e32 v27, 0xffff0000, v10
	s_cbranch_vccnz .LBB3_69
; %bb.68:                               ;   in Loop: Header=BB3_65 Depth=1
	global_load_dword v28, v3, s[20:21]
	s_waitcnt vmcnt(0)
	v_div_scale_f32 v29, s[8:9], v28, v28, v27
	v_div_scale_f32 v30, vcc, v27, v28, v27
	v_rcp_f32_e32 v31, v29
	v_fma_f32 v32, -v29, v31, 1.0
	v_fmac_f32_e32 v31, v32, v31
	v_mul_f32_e32 v32, v30, v31
	v_fma_f32 v33, -v29, v32, v30
	v_fmac_f32_e32 v32, v33, v31
	v_fma_f32 v29, -v29, v32, v30
	v_div_fmas_f32 v29, v29, v31, v32
	v_div_fixup_f32 v27, v29, v28, v27
	v_bfe_u32 v28, v27, 16, 1
	v_add3_u32 v28, v27, v28, s14
	v_and_b32_e32 v28, 0xffff0000, v28
	v_cmp_o_f32_e32 vcc, v27, v27
	v_cndmask_b32_e32 v28, v25, v28, vcc
	v_or_b32_sdwa v10, v28, v10 dst_sel:DWORD dst_unused:UNUSED_PAD src0_sel:DWORD src1_sel:WORD_0
.LBB3_69:                               ;   in Loop: Header=BB3_65 Depth=1
	v_alignbit_b32 v28, v11, v10, 16
	s_and_b64 vcc, exec, s[6:7]
	v_and_b32_e32 v28, 0xffff0000, v28
	s_cbranch_vccnz .LBB3_71
; %bb.70:                               ;   in Loop: Header=BB3_65 Depth=1
	global_load_dword v29, v3, s[20:21]
	v_and_b32_e32 v11, 0xffff0000, v11
	s_waitcnt vmcnt(0)
	v_div_scale_f32 v30, s[8:9], v29, v29, v28
	v_div_scale_f32 v31, vcc, v28, v29, v28
	v_rcp_f32_e32 v32, v30
	v_fma_f32 v33, -v30, v32, 1.0
	v_fmac_f32_e32 v32, v33, v32
	v_mul_f32_e32 v33, v31, v32
	v_fma_f32 v34, -v30, v33, v31
	v_fmac_f32_e32 v33, v34, v32
	v_fma_f32 v30, -v30, v33, v31
	v_div_fmas_f32 v30, v30, v32, v33
	v_div_fixup_f32 v28, v30, v29, v28
	v_bfe_u32 v29, v28, 16, 1
	v_cmp_o_f32_e32 vcc, v28, v28
	v_add3_u32 v29, v28, v29, s14
	v_cndmask_b32_sdwa v29, v24, v29, vcc dst_sel:DWORD dst_unused:UNUSED_PAD src0_sel:DWORD src1_sel:WORD_1
	v_or_b32_e32 v11, v29, v11
.LBB3_71:                               ;   in Loop: Header=BB3_65 Depth=1
	s_and_b64 vcc, exec, s[6:7]
	v_and_b32_e32 v29, 0xffff0000, v11
	s_cbranch_vccnz .LBB3_73
; %bb.72:                               ;   in Loop: Header=BB3_65 Depth=1
	global_load_dword v30, v3, s[20:21]
	s_waitcnt vmcnt(0)
	v_div_scale_f32 v31, s[8:9], v30, v30, v29
	v_div_scale_f32 v32, vcc, v29, v30, v29
	v_rcp_f32_e32 v33, v31
	v_fma_f32 v34, -v31, v33, 1.0
	v_fmac_f32_e32 v33, v34, v33
	v_mul_f32_e32 v34, v32, v33
	v_fma_f32 v35, -v31, v34, v32
	v_fmac_f32_e32 v34, v35, v33
	v_fma_f32 v31, -v31, v34, v32
	v_div_fmas_f32 v31, v31, v33, v34
	v_div_fixup_f32 v29, v31, v30, v29
	v_bfe_u32 v30, v29, 16, 1
	v_add3_u32 v30, v29, v30, s14
	v_and_b32_e32 v30, 0xffff0000, v30
	v_cmp_o_f32_e32 vcc, v29, v29
	v_cndmask_b32_e32 v30, v25, v30, vcc
	v_or_b32_sdwa v11, v30, v11 dst_sel:DWORD dst_unused:UNUSED_PAD src0_sel:DWORD src1_sel:WORD_0
.LBB3_73:                               ;   in Loop: Header=BB3_65 Depth=1
	s_waitcnt vmcnt(1)
	v_lshlrev_b32_e32 v30, 16, v12
	v_cndmask_b32_e64 v26, v26, -v26, s[18:19]
	v_fma_f32 v31, v17, v30, v26
	v_cndmask_b32_e64 v31, v26, v31, s[4:5]
	s_waitcnt vmcnt(0)
	v_lshlrev_b32_e32 v26, 16, v14
	v_mul_f32_e32 v32, v19, v31
	v_fmac_f32_e32 v32, v18, v26
	v_cndmask_b32_e64 v26, v32, v31, s[2:3]
	v_fmac_f32_e32 v31, v26, v18
	v_cndmask_b32_e64 v31, v26, v31, s[0:1]
	v_fma_f32 v30, -v16, v31, v30
	v_bfe_u32 v31, v30, 16, 1
	v_add3_u32 v31, v30, v31, s14
	v_lshrrev_b32_e32 v31, 16, v31
	v_cmp_o_f32_e32 vcc, v30, v30
	v_cndmask_b32_e32 v30, v24, v31, vcc
	v_and_b32_e32 v31, 0xffff0000, v12
	v_cndmask_b32_e64 v27, v27, -v27, s[18:19]
	v_fma_f32 v32, v17, v31, v27
	v_cndmask_b32_e64 v32, v27, v32, s[4:5]
	v_and_b32_e32 v27, 0xffff0000, v14
	v_mul_f32_e32 v33, v19, v32
	v_fmac_f32_e32 v33, v18, v27
	v_cndmask_b32_e64 v27, v33, v32, s[2:3]
	v_fmac_f32_e32 v32, v27, v18
	v_cndmask_b32_e64 v32, v27, v32, s[0:1]
	v_fma_f32 v31, -v16, v32, v31
	v_bfe_u32 v32, v31, 16, 1
	v_add3_u32 v32, v31, v32, s14
	v_and_b32_e32 v32, 0xffff0000, v32
	v_cmp_o_f32_e32 vcc, v31, v31
	v_cndmask_b32_e32 v31, v25, v32, vcc
	v_alignbit_b32 v12, v13, v12, 16
	v_or_b32_e32 v30, v31, v30
	v_and_b32_e32 v31, 0xffff0000, v12
	v_cndmask_b32_e64 v12, v28, -v28, s[18:19]
	v_fma_f32 v28, v17, v31, v12
	v_cndmask_b32_e64 v28, v12, v28, s[4:5]
	v_alignbit_b32 v12, v15, v14, 16
	v_and_b32_e32 v12, 0xffff0000, v12
	v_mul_f32_e32 v14, v19, v28
	v_fmac_f32_e32 v14, v18, v12
	v_cndmask_b32_e64 v12, v14, v28, s[2:3]
	v_fmac_f32_e32 v28, v12, v18
	v_cndmask_b32_e64 v14, v12, v28, s[0:1]
	v_fma_f32 v14, -v16, v14, v31
	v_bfe_u32 v28, v14, 16, 1
	v_add3_u32 v28, v14, v28, s14
	v_lshrrev_b32_e32 v28, 16, v28
	v_cmp_o_f32_e32 vcc, v14, v14
	v_cndmask_b32_e32 v14, v24, v28, vcc
	v_and_b32_e32 v28, 0xffff0000, v13
	v_cndmask_b32_e64 v13, v29, -v29, s[18:19]
	v_fma_f32 v29, v17, v28, v13
	v_cndmask_b32_e64 v29, v13, v29, s[4:5]
	v_and_b32_e32 v13, 0xffff0000, v15
	v_mul_f32_e32 v15, v19, v29
	v_fmac_f32_e32 v15, v18, v13
	v_cndmask_b32_e64 v13, v15, v29, s[2:3]
	v_fmac_f32_e32 v29, v13, v18
	v_cndmask_b32_e64 v15, v13, v29, s[0:1]
	v_fma_f32 v15, -v16, v15, v28
	v_bfe_u32 v28, v15, 16, 1
	v_add3_u32 v28, v15, v28, s14
	v_and_b32_e32 v28, 0xffff0000, v28
	v_cmp_o_f32_e32 vcc, v15, v15
	v_cndmask_b32_e32 v15, v25, v28, vcc
	v_or3_b32 v15, 0, v14, v15
	v_or3_b32 v14, v30, 0, 0
	s_and_b64 vcc, exec, s[6:7]
	global_store_dwordx2 v[6:7], v[14:15], off
	s_cbranch_vccnz .LBB3_64
; %bb.74:                               ;   in Loop: Header=BB3_65 Depth=1
	global_store_dwordx2 v[8:9], v[10:11], off
	s_branch .LBB3_64
.LBB3_75:
	s_endpgm
.LBB3_76:
                                        ; implicit-def: $sgpr12
	s_load_dword s6, s[0:1], 0x740
	v_mov_b32_e32 v16, s12
	s_branch .LBB3_5
	.section	.rodata,"a",@progbits
	.p2align	6, 0x0
	.amdhsa_kernel _ZN2at6native12_GLOBAL__N_125multi_tensor_apply_kernelINS1_18TensorListMetadataILi3EEENS1_19FusedSgdMathFunctorIN3c108BFloat16ELi3EEEJddPfddbbbS9_S9_EEEvT_T0_DpT1_
		.amdhsa_group_segment_fixed_size 0
		.amdhsa_private_segment_fixed_size 0
		.amdhsa_kernarg_size 3472
		.amdhsa_user_sgpr_count 6
		.amdhsa_user_sgpr_private_segment_buffer 1
		.amdhsa_user_sgpr_dispatch_ptr 0
		.amdhsa_user_sgpr_queue_ptr 0
		.amdhsa_user_sgpr_kernarg_segment_ptr 1
		.amdhsa_user_sgpr_dispatch_id 0
		.amdhsa_user_sgpr_flat_scratch_init 0
		.amdhsa_user_sgpr_private_segment_size 0
		.amdhsa_uses_dynamic_stack 0
		.amdhsa_system_sgpr_private_segment_wavefront_offset 0
		.amdhsa_system_sgpr_workgroup_id_x 1
		.amdhsa_system_sgpr_workgroup_id_y 0
		.amdhsa_system_sgpr_workgroup_id_z 0
		.amdhsa_system_sgpr_workgroup_info 0
		.amdhsa_system_vgpr_workitem_id 0
		.amdhsa_next_free_vgpr 53
		.amdhsa_next_free_sgpr 46
		.amdhsa_reserve_vcc 1
		.amdhsa_reserve_flat_scratch 0
		.amdhsa_float_round_mode_32 0
		.amdhsa_float_round_mode_16_64 0
		.amdhsa_float_denorm_mode_32 3
		.amdhsa_float_denorm_mode_16_64 3
		.amdhsa_dx10_clamp 1
		.amdhsa_ieee_mode 1
		.amdhsa_fp16_overflow 0
		.amdhsa_exception_fp_ieee_invalid_op 0
		.amdhsa_exception_fp_denorm_src 0
		.amdhsa_exception_fp_ieee_div_zero 0
		.amdhsa_exception_fp_ieee_overflow 0
		.amdhsa_exception_fp_ieee_underflow 0
		.amdhsa_exception_fp_ieee_inexact 0
		.amdhsa_exception_int_div_zero 0
	.end_amdhsa_kernel
	.section	.text._ZN2at6native12_GLOBAL__N_125multi_tensor_apply_kernelINS1_18TensorListMetadataILi3EEENS1_19FusedSgdMathFunctorIN3c108BFloat16ELi3EEEJddPfddbbbS9_S9_EEEvT_T0_DpT1_,"axG",@progbits,_ZN2at6native12_GLOBAL__N_125multi_tensor_apply_kernelINS1_18TensorListMetadataILi3EEENS1_19FusedSgdMathFunctorIN3c108BFloat16ELi3EEEJddPfddbbbS9_S9_EEEvT_T0_DpT1_,comdat
.Lfunc_end3:
	.size	_ZN2at6native12_GLOBAL__N_125multi_tensor_apply_kernelINS1_18TensorListMetadataILi3EEENS1_19FusedSgdMathFunctorIN3c108BFloat16ELi3EEEJddPfddbbbS9_S9_EEEvT_T0_DpT1_, .Lfunc_end3-_ZN2at6native12_GLOBAL__N_125multi_tensor_apply_kernelINS1_18TensorListMetadataILi3EEENS1_19FusedSgdMathFunctorIN3c108BFloat16ELi3EEEJddPfddbbbS9_S9_EEEvT_T0_DpT1_
                                        ; -- End function
	.set _ZN2at6native12_GLOBAL__N_125multi_tensor_apply_kernelINS1_18TensorListMetadataILi3EEENS1_19FusedSgdMathFunctorIN3c108BFloat16ELi3EEEJddPfddbbbS9_S9_EEEvT_T0_DpT1_.num_vgpr, 53
	.set _ZN2at6native12_GLOBAL__N_125multi_tensor_apply_kernelINS1_18TensorListMetadataILi3EEENS1_19FusedSgdMathFunctorIN3c108BFloat16ELi3EEEJddPfddbbbS9_S9_EEEvT_T0_DpT1_.num_agpr, 0
	.set _ZN2at6native12_GLOBAL__N_125multi_tensor_apply_kernelINS1_18TensorListMetadataILi3EEENS1_19FusedSgdMathFunctorIN3c108BFloat16ELi3EEEJddPfddbbbS9_S9_EEEvT_T0_DpT1_.numbered_sgpr, 46
	.set _ZN2at6native12_GLOBAL__N_125multi_tensor_apply_kernelINS1_18TensorListMetadataILi3EEENS1_19FusedSgdMathFunctorIN3c108BFloat16ELi3EEEJddPfddbbbS9_S9_EEEvT_T0_DpT1_.num_named_barrier, 0
	.set _ZN2at6native12_GLOBAL__N_125multi_tensor_apply_kernelINS1_18TensorListMetadataILi3EEENS1_19FusedSgdMathFunctorIN3c108BFloat16ELi3EEEJddPfddbbbS9_S9_EEEvT_T0_DpT1_.private_seg_size, 0
	.set _ZN2at6native12_GLOBAL__N_125multi_tensor_apply_kernelINS1_18TensorListMetadataILi3EEENS1_19FusedSgdMathFunctorIN3c108BFloat16ELi3EEEJddPfddbbbS9_S9_EEEvT_T0_DpT1_.uses_vcc, 1
	.set _ZN2at6native12_GLOBAL__N_125multi_tensor_apply_kernelINS1_18TensorListMetadataILi3EEENS1_19FusedSgdMathFunctorIN3c108BFloat16ELi3EEEJddPfddbbbS9_S9_EEEvT_T0_DpT1_.uses_flat_scratch, 0
	.set _ZN2at6native12_GLOBAL__N_125multi_tensor_apply_kernelINS1_18TensorListMetadataILi3EEENS1_19FusedSgdMathFunctorIN3c108BFloat16ELi3EEEJddPfddbbbS9_S9_EEEvT_T0_DpT1_.has_dyn_sized_stack, 0
	.set _ZN2at6native12_GLOBAL__N_125multi_tensor_apply_kernelINS1_18TensorListMetadataILi3EEENS1_19FusedSgdMathFunctorIN3c108BFloat16ELi3EEEJddPfddbbbS9_S9_EEEvT_T0_DpT1_.has_recursion, 0
	.set _ZN2at6native12_GLOBAL__N_125multi_tensor_apply_kernelINS1_18TensorListMetadataILi3EEENS1_19FusedSgdMathFunctorIN3c108BFloat16ELi3EEEJddPfddbbbS9_S9_EEEvT_T0_DpT1_.has_indirect_call, 0
	.section	.AMDGPU.csdata,"",@progbits
; Kernel info:
; codeLenInByte = 4520
; TotalNumSgprs: 50
; NumVgprs: 53
; ScratchSize: 0
; MemoryBound: 0
; FloatMode: 240
; IeeeMode: 1
; LDSByteSize: 0 bytes/workgroup (compile time only)
; SGPRBlocks: 6
; VGPRBlocks: 13
; NumSGPRsForWavesPerEU: 50
; NumVGPRsForWavesPerEU: 53
; Occupancy: 4
; WaveLimiterHint : 0
; COMPUTE_PGM_RSRC2:SCRATCH_EN: 0
; COMPUTE_PGM_RSRC2:USER_SGPR: 6
; COMPUTE_PGM_RSRC2:TRAP_HANDLER: 0
; COMPUTE_PGM_RSRC2:TGID_X_EN: 1
; COMPUTE_PGM_RSRC2:TGID_Y_EN: 0
; COMPUTE_PGM_RSRC2:TGID_Z_EN: 0
; COMPUTE_PGM_RSRC2:TIDIG_COMP_CNT: 0
	.section	.text._ZN2at6native12_GLOBAL__N_125multi_tensor_apply_kernelINS1_18TensorListMetadataILi2EEENS1_19FusedSgdMathFunctorIdLi2EEEJddPfddbbbS7_S7_EEEvT_T0_DpT1_,"axG",@progbits,_ZN2at6native12_GLOBAL__N_125multi_tensor_apply_kernelINS1_18TensorListMetadataILi2EEENS1_19FusedSgdMathFunctorIdLi2EEEJddPfddbbbS7_S7_EEEvT_T0_DpT1_,comdat
	.globl	_ZN2at6native12_GLOBAL__N_125multi_tensor_apply_kernelINS1_18TensorListMetadataILi2EEENS1_19FusedSgdMathFunctorIdLi2EEEJddPfddbbbS7_S7_EEEvT_T0_DpT1_ ; -- Begin function _ZN2at6native12_GLOBAL__N_125multi_tensor_apply_kernelINS1_18TensorListMetadataILi2EEENS1_19FusedSgdMathFunctorIdLi2EEEJddPfddbbbS7_S7_EEEvT_T0_DpT1_
	.p2align	8
	.type	_ZN2at6native12_GLOBAL__N_125multi_tensor_apply_kernelINS1_18TensorListMetadataILi2EEENS1_19FusedSgdMathFunctorIdLi2EEEJddPfddbbbS7_S7_EEEvT_T0_DpT1_,@function
_ZN2at6native12_GLOBAL__N_125multi_tensor_apply_kernelINS1_18TensorListMetadataILi2EEENS1_19FusedSgdMathFunctorIdLi2EEEJddPfddbbbS7_S7_EEEvT_T0_DpT1_: ; @_ZN2at6native12_GLOBAL__N_125multi_tensor_apply_kernelINS1_18TensorListMetadataILi2EEENS1_19FusedSgdMathFunctorIdLi2EEEJddPfddbbbS7_S7_EEEvT_T0_DpT1_
; %bb.0:
	s_load_dwordx4 s[16:19], s[4:5], 0xc80
	s_waitcnt lgkmcnt(0)
	s_cmp_eq_u64 s[18:19], 0
	s_cselect_b64 s[0:1], -1, 0
	s_and_b64 vcc, exec, s[0:1]
	s_cbranch_vccnz .LBB4_2
; %bb.1:
	s_load_dword s0, s[18:19], 0x0
	s_waitcnt lgkmcnt(0)
	v_cmp_neq_f32_e64 s[0:1], s0, 1.0
.LBB4_2:
	s_andn2_b64 vcc, exec, s[0:1]
	s_cbranch_vccnz .LBB4_58
; %bb.3:
	v_mov_b32_e32 v1, s6
	global_load_ubyte v1, v1, s[4:5] offset:1536
	s_load_dwordx4 s[0:3], s[4:5], 0xc60
	s_add_u32 s7, s4, s6
	s_mul_hi_u32 s8, s6, 3
	s_mul_i32 s6, s6, 3
	s_addc_u32 s9, s5, 0
	s_add_u32 s6, s7, s6
	s_addc_u32 s7, s9, s8
	s_load_dword s12, s[6:7], 0x740
	s_waitcnt lgkmcnt(0)
	v_mov_b32_e32 v21, s3
	s_mov_b32 s11, 0
	s_cmp_eq_u64 s[0:1], 0
	v_mov_b32_e32 v20, s2
	s_waitcnt vmcnt(0)
	v_readfirstlane_b32 s6, v1
	s_cbranch_scc1 .LBB4_5
; %bb.4:
	s_load_dword s0, s[0:1], 0x0
	s_waitcnt lgkmcnt(0)
	v_cvt_f64_f32_e32 v[20:21], s0
.LBB4_5:
	s_load_dword s0, s[4:5], 0xc78
	s_waitcnt lgkmcnt(0)
	s_bitcmp1_b32 s0, 8
	s_cselect_b64 s[0:1], -1, 0
	s_and_b32 s2, s6, 0xff
	s_lshl_b32 s10, s2, 3
	s_load_dwordx2 s[2:3], s[4:5], s10 offset:0x400
	s_ashr_i32 s13, s12, 31
	s_load_dwordx2 s[18:19], s[4:5], 0xc50
	s_load_dwordx2 s[6:7], s[4:5], s10 offset:0x0
	s_load_dwordx2 s[8:9], s[4:5], s10 offset:0x200
	s_lshl_b64 s[14:15], s[12:13], 16
	s_waitcnt lgkmcnt(0)
	s_sub_u32 s20, s2, s14
	s_subb_u32 s21, s3, s15
	s_lshl_b64 s[22:23], s[12:13], 19
	s_add_u32 s33, s6, s22
	s_addc_u32 s35, s7, s23
	s_and_b32 s10, s33, 31
	s_add_u32 s34, s8, s22
	s_addc_u32 s36, s9, s23
	s_and_b32 s12, s34, 31
	s_mov_b32 s13, s11
	s_and_b32 s2, s2, 3
	s_mov_b32 s3, s11
	s_or_b64 s[2:3], s[2:3], s[12:13]
	s_or_b64 s[2:3], s[2:3], s[10:11]
	s_cmp_eq_u64 s[2:3], 0
	s_mov_b64 s[2:3], -1
	s_cbranch_scc1 .LBB4_44
; %bb.6:
	v_cmp_lt_i64_e64 s[2:3], s[20:21], 1
	s_and_b64 vcc, exec, s[2:3]
	s_cbranch_vccnz .LBB4_43
; %bb.7:
	v_mov_b32_e32 v1, 0x10000
	s_load_dword s10, s[4:5], 0xc9c
	v_mov_b32_e32 v2, 0
	v_cmp_lt_i64_e32 vcc, s[20:21], v[1:2]
	v_lshlrev_b32_e32 v1, 3, v0
	s_and_b64 s[2:3], vcc, exec
	s_cselect_b32 s25, s21, 0
	s_cselect_b32 s24, s20, 0x10000
	v_mov_b32_e32 v2, 0
	s_waitcnt lgkmcnt(0)
	s_and_b32 s12, s10, 0xffff
	v_mov_b32_e32 v3, s7
	v_add_co_u32_e32 v17, vcc, s6, v1
	v_addc_co_u32_e32 v18, vcc, 0, v3, vcc
	v_mad_u64_u32 v[2:3], s[10:11], s12, 24, v[1:2]
	v_mov_b32_e32 v4, s9
	v_add_co_u32_e32 v19, vcc, s8, v1
	v_addc_co_u32_e32 v22, vcc, 0, v4, vcc
	v_mov_b32_e32 v4, s7
	v_add_co_u32_e32 v23, vcc, s6, v2
	s_lshl_b32 s13, s12, 1
	v_addc_co_u32_e32 v24, vcc, v4, v3, vcc
	s_cmp_lg_u64 s[16:17], 0
	v_mov_b32_e32 v4, s9
	v_add_co_u32_e32 v25, vcc, s8, v2
	s_cselect_b64 s[28:29], -1, 0
	v_addc_co_u32_e32 v26, vcc, v4, v3, vcc
	s_lshl_b32 s10, s12, 4
	v_add_co_u32_e32 v1, vcc, s10, v1
	v_addc_co_u32_e64 v2, s[10:11], 0, 0, vcc
	v_mov_b32_e32 v3, s7
	v_add_co_u32_e32 v27, vcc, s6, v1
	v_addc_co_u32_e32 v28, vcc, v3, v2, vcc
	v_mov_b32_e32 v3, s9
	v_add_co_u32_e32 v29, vcc, s8, v1
	v_addc_co_u32_e32 v30, vcc, v3, v2, vcc
	v_add_co_u32_e32 v31, vcc, s12, v0
	v_cmp_neq_f64_e64 s[2:3], s[18:19], 0
	v_lshlrev_b32_e32 v1, 3, v31
	v_addc_co_u32_e64 v32, s[10:11], 0, 0, vcc
	v_mov_b32_e32 v2, s7
	v_add_co_u32_e32 v33, vcc, s6, v1
	v_addc_co_u32_e32 v34, vcc, 0, v2, vcc
	v_mov_b32_e32 v2, s9
	v_add_co_u32_e32 v35, vcc, s8, v1
	s_mul_i32 s14, s12, 3
	v_addc_co_u32_e32 v36, vcc, 0, v2, vcc
	v_add_co_u32_e32 v37, vcc, s14, v0
	v_addc_co_u32_e64 v38, s[6:7], 0, 0, vcc
	v_add_co_u32_e32 v39, vcc, s13, v0
	s_mov_b64 s[26:27], 0
	s_lshl_b32 s37, s12, 2
	s_lshl_b32 s38, s12, 5
	v_addc_co_u32_e64 v40, s[6:7], 0, 0, vcc
	s_branch .LBB4_10
.LBB4_8:                                ;   in Loop: Header=BB4_10 Depth=1
	s_or_b64 exec, exec, s[6:7]
.LBB4_9:                                ;   in Loop: Header=BB4_10 Depth=1
	v_add_co_u32_e32 v17, vcc, s38, v17
	v_addc_co_u32_e32 v18, vcc, 0, v18, vcc
	v_add_co_u32_e32 v19, vcc, s38, v19
	v_addc_co_u32_e32 v22, vcc, 0, v22, vcc
	;; [unrolled: 2-line block ×6, first 2 shown]
	s_add_u32 s26, s26, s37
	v_add_co_u32_e32 v33, vcc, s38, v33
	s_waitcnt vmcnt(0)
	v_mov_b32_e32 v1, s24
	s_addc_u32 s27, s27, 0
	v_addc_co_u32_e32 v34, vcc, 0, v34, vcc
	v_mov_b32_e32 v2, s25
	v_cmp_lt_i64_e32 vcc, s[26:27], v[1:2]
	v_add_co_u32_e64 v35, s[6:7], s38, v35
	v_addc_co_u32_e64 v36, s[6:7], 0, v36, s[6:7]
	s_cbranch_vccz .LBB4_43
.LBB4_10:                               ; =>This Inner Loop Header: Depth=1
	v_mov_b32_e32 v2, s27
	v_add_co_u32_e32 v1, vcc, s26, v0
	v_addc_co_u32_e32 v2, vcc, 0, v2, vcc
	v_cmp_gt_i64_e64 s[6:7], s[24:25], v[1:2]
	v_mov_b32_e32 v1, 0
	v_mov_b32_e32 v3, 0
	;; [unrolled: 1-line block ×6, first 2 shown]
	s_and_saveexec_b64 s[8:9], s[6:7]
	s_cbranch_execz .LBB4_12
; %bb.11:                               ;   in Loop: Header=BB4_10 Depth=1
	v_mov_b32_e32 v3, s23
	v_add_co_u32_e32 v5, vcc, s22, v19
	v_addc_co_u32_e32 v6, vcc, v22, v3, vcc
	v_add_co_u32_e32 v7, vcc, s22, v17
	v_addc_co_u32_e32 v8, vcc, v18, v3, vcc
	global_load_dwordx2 v[9:10], v[7:8], off
	global_load_dwordx2 v[3:4], v[5:6], off
.LBB4_12:                               ;   in Loop: Header=BB4_10 Depth=1
	s_or_b64 exec, exec, s[8:9]
	v_mov_b32_e32 v6, s27
	v_add_co_u32_e32 v5, vcc, s26, v31
	v_addc_co_u32_e32 v6, vcc, v32, v6, vcc
	v_cmp_gt_i64_e64 s[8:9], s[24:25], v[5:6]
	v_mov_b32_e32 v11, 0
	v_mov_b32_e32 v12, 0
	s_and_saveexec_b64 s[10:11], s[8:9]
	s_cbranch_execz .LBB4_14
; %bb.13:                               ;   in Loop: Header=BB4_10 Depth=1
	v_mov_b32_e32 v1, s23
	v_add_co_u32_e32 v5, vcc, s22, v35
	v_addc_co_u32_e32 v6, vcc, v36, v1, vcc
	v_add_co_u32_e32 v7, vcc, s22, v33
	v_addc_co_u32_e32 v8, vcc, v34, v1, vcc
	global_load_dwordx2 v[11:12], v[7:8], off
	global_load_dwordx2 v[1:2], v[5:6], off
.LBB4_14:                               ;   in Loop: Header=BB4_10 Depth=1
	s_or_b64 exec, exec, s[10:11]
	v_mov_b32_e32 v6, s27
	v_add_co_u32_e32 v5, vcc, s26, v39
	v_addc_co_u32_e32 v6, vcc, v40, v6, vcc
	v_cmp_gt_i64_e64 s[10:11], s[24:25], v[5:6]
	v_mov_b32_e32 v5, 0
	v_mov_b32_e32 v7, 0
	;; [unrolled: 1-line block ×6, first 2 shown]
	s_and_saveexec_b64 s[12:13], s[10:11]
	s_cbranch_execz .LBB4_16
; %bb.15:                               ;   in Loop: Header=BB4_10 Depth=1
	v_mov_b32_e32 v7, s23
	v_add_co_u32_e32 v15, vcc, s22, v29
	v_addc_co_u32_e32 v16, vcc, v30, v7, vcc
	v_add_co_u32_e32 v41, vcc, s22, v27
	v_addc_co_u32_e32 v42, vcc, v28, v7, vcc
	global_load_dwordx2 v[13:14], v[41:42], off
	global_load_dwordx2 v[7:8], v[15:16], off
.LBB4_16:                               ;   in Loop: Header=BB4_10 Depth=1
	s_or_b64 exec, exec, s[12:13]
	v_mov_b32_e32 v16, s27
	v_add_co_u32_e32 v15, vcc, s26, v37
	v_addc_co_u32_e32 v16, vcc, v38, v16, vcc
	v_cmp_gt_i64_e64 s[12:13], s[24:25], v[15:16]
	v_mov_b32_e32 v15, 0
	v_mov_b32_e32 v16, 0
	s_and_saveexec_b64 s[14:15], s[12:13]
	s_cbranch_execz .LBB4_18
; %bb.17:                               ;   in Loop: Header=BB4_10 Depth=1
	v_mov_b32_e32 v5, s23
	v_add_co_u32_e32 v41, vcc, s22, v25
	v_addc_co_u32_e32 v42, vcc, v26, v5, vcc
	v_add_co_u32_e32 v43, vcc, s22, v23
	v_addc_co_u32_e32 v44, vcc, v24, v5, vcc
	global_load_dwordx2 v[15:16], v[43:44], off
	global_load_dwordx2 v[5:6], v[41:42], off
.LBB4_18:                               ;   in Loop: Header=BB4_10 Depth=1
	s_or_b64 exec, exec, s[14:15]
	v_cndmask_b32_e64 v41, 0, 1, s[28:29]
	v_cmp_ne_u32_e64 s[14:15], 1, v41
	s_andn2_b64 vcc, exec, s[28:29]
	s_cbranch_vccnz .LBB4_20
; %bb.19:                               ;   in Loop: Header=BB4_10 Depth=1
	s_load_dword s30, s[16:17], 0x0
	s_waitcnt lgkmcnt(0)
	v_cvt_f64_f32_e32 v[41:42], s30
	s_waitcnt vmcnt(0)
	v_div_scale_f64 v[43:44], s[30:31], v[41:42], v[41:42], v[3:4]
	v_div_scale_f64 v[49:50], vcc, v[3:4], v[41:42], v[3:4]
	v_rcp_f64_e32 v[45:46], v[43:44]
	v_fma_f64 v[47:48], -v[43:44], v[45:46], 1.0
	v_fma_f64 v[45:46], v[45:46], v[47:48], v[45:46]
	v_fma_f64 v[47:48], -v[43:44], v[45:46], 1.0
	v_fma_f64 v[45:46], v[45:46], v[47:48], v[45:46]
	v_mul_f64 v[47:48], v[49:50], v[45:46]
	v_fma_f64 v[43:44], -v[43:44], v[47:48], v[49:50]
	v_div_fmas_f64 v[43:44], v[43:44], v[45:46], v[47:48]
	v_div_fixup_f64 v[3:4], v[43:44], v[41:42], v[3:4]
.LBB4_20:                               ;   in Loop: Header=BB4_10 Depth=1
	s_and_b64 vcc, exec, s[14:15]
	s_cbranch_vccnz .LBB4_22
; %bb.21:                               ;   in Loop: Header=BB4_10 Depth=1
	s_load_dword s30, s[16:17], 0x0
	s_waitcnt lgkmcnt(0)
	v_cvt_f64_f32_e32 v[41:42], s30
	s_waitcnt vmcnt(0)
	v_div_scale_f64 v[43:44], s[30:31], v[41:42], v[41:42], v[1:2]
	v_div_scale_f64 v[49:50], vcc, v[1:2], v[41:42], v[1:2]
	v_rcp_f64_e32 v[45:46], v[43:44]
	v_fma_f64 v[47:48], -v[43:44], v[45:46], 1.0
	v_fma_f64 v[45:46], v[45:46], v[47:48], v[45:46]
	v_fma_f64 v[47:48], -v[43:44], v[45:46], 1.0
	v_fma_f64 v[45:46], v[45:46], v[47:48], v[45:46]
	v_mul_f64 v[47:48], v[49:50], v[45:46]
	v_fma_f64 v[43:44], -v[43:44], v[47:48], v[49:50]
	v_div_fmas_f64 v[43:44], v[43:44], v[45:46], v[47:48]
	v_div_fixup_f64 v[1:2], v[43:44], v[41:42], v[1:2]
.LBB4_22:                               ;   in Loop: Header=BB4_10 Depth=1
	s_and_b64 vcc, exec, s[14:15]
	;; [unrolled: 19-line block ×3, first 2 shown]
	s_cbranch_vccnz .LBB4_26
; %bb.25:                               ;   in Loop: Header=BB4_10 Depth=1
	s_load_dword s30, s[16:17], 0x0
	s_waitcnt lgkmcnt(0)
	v_cvt_f64_f32_e32 v[41:42], s30
	s_waitcnt vmcnt(0)
	v_div_scale_f64 v[43:44], s[30:31], v[41:42], v[41:42], v[5:6]
	v_div_scale_f64 v[49:50], vcc, v[5:6], v[41:42], v[5:6]
	v_rcp_f64_e32 v[45:46], v[43:44]
	v_fma_f64 v[47:48], -v[43:44], v[45:46], 1.0
	v_fma_f64 v[45:46], v[45:46], v[47:48], v[45:46]
	v_fma_f64 v[47:48], -v[43:44], v[45:46], 1.0
	v_fma_f64 v[45:46], v[45:46], v[47:48], v[45:46]
	v_mul_f64 v[47:48], v[49:50], v[45:46]
	v_fma_f64 v[43:44], -v[43:44], v[47:48], v[49:50]
	v_div_fmas_f64 v[43:44], v[43:44], v[45:46], v[47:48]
	v_div_fixup_f64 v[5:6], v[43:44], v[41:42], v[5:6]
.LBB4_26:                               ;   in Loop: Header=BB4_10 Depth=1
	s_and_saveexec_b64 s[30:31], s[6:7]
	s_cbranch_execnz .LBB4_31
; %bb.27:                               ;   in Loop: Header=BB4_10 Depth=1
	s_or_b64 exec, exec, s[30:31]
	s_and_saveexec_b64 s[30:31], s[8:9]
	s_cbranch_execnz .LBB4_32
.LBB4_28:                               ;   in Loop: Header=BB4_10 Depth=1
	s_or_b64 exec, exec, s[30:31]
	s_and_saveexec_b64 s[30:31], s[10:11]
	s_cbranch_execnz .LBB4_33
.LBB4_29:                               ;   in Loop: Header=BB4_10 Depth=1
	s_or_b64 exec, exec, s[30:31]
	s_and_saveexec_b64 s[30:31], s[12:13]
	s_cbranch_execnz .LBB4_34
.LBB4_30:                               ;   in Loop: Header=BB4_10 Depth=1
	s_or_b64 exec, exec, s[30:31]
	s_and_b64 vcc, exec, s[14:15]
	s_cbranch_vccz .LBB4_35
	s_branch .LBB4_9
.LBB4_31:                               ;   in Loop: Header=BB4_10 Depth=1
	s_waitcnt vmcnt(0)
	v_xor_b32_e32 v41, 0x80000000, v4
	v_cndmask_b32_e64 v42, v4, v41, s[0:1]
	v_mov_b32_e32 v41, v3
	v_fma_f64 v[43:44], s[18:19], v[9:10], v[41:42]
	v_cndmask_b32_e64 v42, v42, v44, s[2:3]
	v_cndmask_b32_e64 v41, v3, v43, s[2:3]
	v_fma_f64 v[9:10], -v[20:21], v[41:42], v[9:10]
	v_mov_b32_e32 v42, s23
	v_add_co_u32_e32 v41, vcc, s22, v17
	v_addc_co_u32_e32 v42, vcc, v18, v42, vcc
	global_store_dwordx2 v[41:42], v[9:10], off
	s_or_b64 exec, exec, s[30:31]
	s_and_saveexec_b64 s[30:31], s[8:9]
	s_cbranch_execz .LBB4_28
.LBB4_32:                               ;   in Loop: Header=BB4_10 Depth=1
	s_waitcnt vmcnt(0)
	v_xor_b32_e32 v9, 0x80000000, v2
	v_cndmask_b32_e64 v10, v2, v9, s[0:1]
	v_mov_b32_e32 v9, v1
	v_fma_f64 v[41:42], s[18:19], v[11:12], v[9:10]
	v_cndmask_b32_e64 v10, v10, v42, s[2:3]
	v_cndmask_b32_e64 v9, v1, v41, s[2:3]
	v_fma_f64 v[9:10], -v[20:21], v[9:10], v[11:12]
	v_mov_b32_e32 v12, s23
	v_add_co_u32_e32 v11, vcc, s22, v33
	v_addc_co_u32_e32 v12, vcc, v34, v12, vcc
	global_store_dwordx2 v[11:12], v[9:10], off
	s_or_b64 exec, exec, s[30:31]
	s_and_saveexec_b64 s[30:31], s[10:11]
	s_cbranch_execz .LBB4_29
.LBB4_33:                               ;   in Loop: Header=BB4_10 Depth=1
	s_waitcnt vmcnt(0)
	v_xor_b32_e32 v9, 0x80000000, v8
	v_cndmask_b32_e64 v10, v8, v9, s[0:1]
	v_mov_b32_e32 v9, v7
	v_fma_f64 v[11:12], s[18:19], v[13:14], v[9:10]
	v_cndmask_b32_e64 v10, v10, v12, s[2:3]
	v_cndmask_b32_e64 v9, v7, v11, s[2:3]
	v_fma_f64 v[9:10], -v[20:21], v[9:10], v[13:14]
	v_mov_b32_e32 v12, s23
	v_add_co_u32_e32 v11, vcc, s22, v27
	v_addc_co_u32_e32 v12, vcc, v28, v12, vcc
	global_store_dwordx2 v[11:12], v[9:10], off
	s_or_b64 exec, exec, s[30:31]
	s_and_saveexec_b64 s[30:31], s[12:13]
	s_cbranch_execz .LBB4_30
.LBB4_34:                               ;   in Loop: Header=BB4_10 Depth=1
	s_waitcnt vmcnt(0)
	v_xor_b32_e32 v9, 0x80000000, v6
	v_cndmask_b32_e64 v10, v6, v9, s[0:1]
	v_mov_b32_e32 v9, v5
	v_fma_f64 v[11:12], s[18:19], v[15:16], v[9:10]
	v_cndmask_b32_e64 v10, v10, v12, s[2:3]
	v_cndmask_b32_e64 v9, v5, v11, s[2:3]
	v_fma_f64 v[9:10], -v[20:21], v[9:10], v[15:16]
	v_mov_b32_e32 v12, s23
	v_add_co_u32_e32 v11, vcc, s22, v23
	v_addc_co_u32_e32 v12, vcc, v24, v12, vcc
	global_store_dwordx2 v[11:12], v[9:10], off
	s_or_b64 exec, exec, s[30:31]
	s_and_b64 vcc, exec, s[14:15]
	s_cbranch_vccnz .LBB4_9
.LBB4_35:                               ;   in Loop: Header=BB4_10 Depth=1
	s_and_saveexec_b64 s[14:15], s[6:7]
	s_cbranch_execnz .LBB4_39
; %bb.36:                               ;   in Loop: Header=BB4_10 Depth=1
	s_or_b64 exec, exec, s[14:15]
	s_and_saveexec_b64 s[6:7], s[8:9]
	s_cbranch_execnz .LBB4_40
.LBB4_37:                               ;   in Loop: Header=BB4_10 Depth=1
	s_or_b64 exec, exec, s[6:7]
	s_and_saveexec_b64 s[6:7], s[10:11]
	s_cbranch_execnz .LBB4_41
.LBB4_38:                               ;   in Loop: Header=BB4_10 Depth=1
	s_or_b64 exec, exec, s[6:7]
	s_and_saveexec_b64 s[6:7], s[12:13]
	s_cbranch_execz .LBB4_8
	s_branch .LBB4_42
.LBB4_39:                               ;   in Loop: Header=BB4_10 Depth=1
	s_waitcnt vmcnt(1)
	v_mov_b32_e32 v10, s23
	v_add_co_u32_e32 v9, vcc, s22, v19
	v_addc_co_u32_e32 v10, vcc, v22, v10, vcc
	s_waitcnt vmcnt(0)
	global_store_dwordx2 v[9:10], v[3:4], off
	s_or_b64 exec, exec, s[14:15]
	s_and_saveexec_b64 s[6:7], s[8:9]
	s_cbranch_execz .LBB4_37
.LBB4_40:                               ;   in Loop: Header=BB4_10 Depth=1
	s_waitcnt vmcnt(0)
	v_mov_b32_e32 v4, s23
	v_add_co_u32_e32 v3, vcc, s22, v35
	v_addc_co_u32_e32 v4, vcc, v36, v4, vcc
	global_store_dwordx2 v[3:4], v[1:2], off
	s_or_b64 exec, exec, s[6:7]
	s_and_saveexec_b64 s[6:7], s[10:11]
	s_cbranch_execz .LBB4_38
.LBB4_41:                               ;   in Loop: Header=BB4_10 Depth=1
	s_waitcnt vmcnt(0)
	v_mov_b32_e32 v2, s23
	v_add_co_u32_e32 v1, vcc, s22, v29
	v_addc_co_u32_e32 v2, vcc, v30, v2, vcc
	global_store_dwordx2 v[1:2], v[7:8], off
	s_or_b64 exec, exec, s[6:7]
	s_and_saveexec_b64 s[6:7], s[12:13]
	s_cbranch_execz .LBB4_8
.LBB4_42:                               ;   in Loop: Header=BB4_10 Depth=1
	s_waitcnt vmcnt(0)
	v_mov_b32_e32 v2, s23
	v_add_co_u32_e32 v1, vcc, s22, v25
	v_addc_co_u32_e32 v2, vcc, v26, v2, vcc
	global_store_dwordx2 v[1:2], v[5:6], off
	s_branch .LBB4_8
.LBB4_43:
	s_mov_b64 s[2:3], 0
.LBB4_44:
	s_andn2_b64 vcc, exec, s[2:3]
	s_cbranch_vccnz .LBB4_58
; %bb.45:
	v_mov_b32_e32 v23, 0
	v_lshlrev_b32_e32 v22, 2, v0
	v_cmp_gt_i64_e32 vcc, s[20:21], v[22:23]
	s_and_saveexec_b64 s[2:3], vcc
	s_cbranch_execz .LBB4_58
; %bb.46:
	s_load_dword s6, s[4:5], 0xc9c
	v_cmp_neq_f64_e64 s[2:3], s[18:19], 0
	s_cmp_lg_u64 s[16:17], 0
	s_cselect_b64 s[4:5], -1, 0
	v_cndmask_b32_e64 v2, 0, 1, s[4:5]
	s_waitcnt lgkmcnt(0)
	s_and_b32 s10, s6, 0xffff
	v_add_lshl_u32 v22, v0, s10, 2
	v_mov_b32_e32 v25, v23
	v_mov_b32_e32 v1, v23
	s_mov_b64 s[8:9], 0
	v_add_u32_e32 v30, s10, v0
	s_lshl_b32 s11, s10, 2
	v_mov_b32_e32 v31, s35
	v_mov_b32_e32 v32, s36
	v_cmp_ne_u32_e64 s[4:5], 1, v2
	s_movk_i32 s12, 0x3fff
	v_mov_b32_e32 v24, v22
	v_mov_b32_e32 v22, v0
	s_branch .LBB4_48
.LBB4_47:                               ;   in Loop: Header=BB4_48 Depth=1
	v_cmp_le_u64_e32 vcc, s[20:21], v[24:25]
	v_cmp_lt_u32_e64 s[6:7], s12, v30
	v_add_u32_e32 v22, s10, v22
	s_or_b64 s[6:7], vcc, s[6:7]
	v_add_co_u32_e32 v24, vcc, s11, v24
	s_and_b64 s[6:7], exec, s[6:7]
	v_mov_b32_e32 v0, v22
	v_add_u32_e32 v30, s10, v30
	v_addc_co_u32_e32 v25, vcc, 0, v25, vcc
	s_or_b64 s[8:9], s[6:7], s[8:9]
	v_mov_b32_e32 v1, v23
	s_andn2_b64 exec, exec, s[8:9]
	s_cbranch_execz .LBB4_58
.LBB4_48:                               ; =>This Inner Loop Header: Depth=1
	v_lshlrev_b64 v[4:5], 5, v[0:1]
	v_add_co_u32_e32 v26, vcc, s33, v4
	v_addc_co_u32_e32 v27, vcc, v31, v5, vcc
	v_add_co_u32_e32 v28, vcc, s34, v4
	v_addc_co_u32_e32 v29, vcc, v32, v5, vcc
	global_load_dwordx4 v[0:3], v[26:27], off offset:16
	global_load_dwordx4 v[12:15], v[26:27], off
	global_load_dwordx4 v[4:7], v[28:29], off offset:16
	global_load_dwordx4 v[8:11], v[28:29], off
	s_and_b64 vcc, exec, s[4:5]
	s_cbranch_vccnz .LBB4_50
; %bb.49:                               ;   in Loop: Header=BB4_48 Depth=1
	global_load_dword v16, v23, s[16:17]
	s_waitcnt vmcnt(0)
	v_cvt_f64_f32_e32 v[16:17], v16
	v_div_scale_f64 v[18:19], s[6:7], v[16:17], v[16:17], v[8:9]
	v_div_scale_f64 v[37:38], vcc, v[8:9], v[16:17], v[8:9]
	v_rcp_f64_e32 v[33:34], v[18:19]
	v_fma_f64 v[35:36], -v[18:19], v[33:34], 1.0
	v_fma_f64 v[33:34], v[33:34], v[35:36], v[33:34]
	v_fma_f64 v[35:36], -v[18:19], v[33:34], 1.0
	v_fma_f64 v[33:34], v[33:34], v[35:36], v[33:34]
	v_mul_f64 v[35:36], v[37:38], v[33:34]
	v_fma_f64 v[18:19], -v[18:19], v[35:36], v[37:38]
	v_div_fmas_f64 v[18:19], v[18:19], v[33:34], v[35:36]
	v_div_fixup_f64 v[8:9], v[18:19], v[16:17], v[8:9]
.LBB4_50:                               ;   in Loop: Header=BB4_48 Depth=1
	s_and_b64 vcc, exec, s[4:5]
	s_cbranch_vccnz .LBB4_52
; %bb.51:                               ;   in Loop: Header=BB4_48 Depth=1
	global_load_dword v16, v23, s[16:17]
	s_waitcnt vmcnt(0)
	v_cvt_f64_f32_e32 v[16:17], v16
	v_div_scale_f64 v[18:19], s[6:7], v[16:17], v[16:17], v[10:11]
	v_div_scale_f64 v[37:38], vcc, v[10:11], v[16:17], v[10:11]
	v_rcp_f64_e32 v[33:34], v[18:19]
	v_fma_f64 v[35:36], -v[18:19], v[33:34], 1.0
	v_fma_f64 v[33:34], v[33:34], v[35:36], v[33:34]
	v_fma_f64 v[35:36], -v[18:19], v[33:34], 1.0
	v_fma_f64 v[33:34], v[33:34], v[35:36], v[33:34]
	v_mul_f64 v[35:36], v[37:38], v[33:34]
	v_fma_f64 v[18:19], -v[18:19], v[35:36], v[37:38]
	v_div_fmas_f64 v[18:19], v[18:19], v[33:34], v[35:36]
	v_div_fixup_f64 v[10:11], v[18:19], v[16:17], v[10:11]
.LBB4_52:                               ;   in Loop: Header=BB4_48 Depth=1
	s_and_b64 vcc, exec, s[4:5]
	s_cbranch_vccnz .LBB4_54
; %bb.53:                               ;   in Loop: Header=BB4_48 Depth=1
	global_load_dword v16, v23, s[16:17]
	s_waitcnt vmcnt(0)
	v_cvt_f64_f32_e32 v[16:17], v16
	v_div_scale_f64 v[18:19], s[6:7], v[16:17], v[16:17], v[4:5]
	v_div_scale_f64 v[37:38], vcc, v[4:5], v[16:17], v[4:5]
	v_rcp_f64_e32 v[33:34], v[18:19]
	v_fma_f64 v[35:36], -v[18:19], v[33:34], 1.0
	v_fma_f64 v[33:34], v[33:34], v[35:36], v[33:34]
	v_fma_f64 v[35:36], -v[18:19], v[33:34], 1.0
	v_fma_f64 v[33:34], v[33:34], v[35:36], v[33:34]
	v_mul_f64 v[35:36], v[37:38], v[33:34]
	v_fma_f64 v[18:19], -v[18:19], v[35:36], v[37:38]
	v_div_fmas_f64 v[18:19], v[18:19], v[33:34], v[35:36]
	v_div_fixup_f64 v[4:5], v[18:19], v[16:17], v[4:5]
.LBB4_54:                               ;   in Loop: Header=BB4_48 Depth=1
	s_waitcnt vmcnt(0)
	v_xor_b32_e32 v16, 0x80000000, v11
	v_cndmask_b32_e64 v17, v11, v16, s[0:1]
	v_mov_b32_e32 v16, v10
	v_fma_f64 v[18:19], s[18:19], v[14:15], v[16:17]
	v_xor_b32_e32 v16, 0x80000000, v9
	v_cndmask_b32_e64 v34, v9, v16, s[0:1]
	v_mov_b32_e32 v33, v8
	v_xor_b32_e32 v16, 0x80000000, v5
	v_fma_f64 v[35:36], s[18:19], v[12:13], v[33:34]
	v_cndmask_b32_e64 v38, v5, v16, s[0:1]
	v_mov_b32_e32 v37, v4
	v_fma_f64 v[39:40], s[18:19], v[0:1], v[37:38]
	v_cndmask_b32_e64 v17, v17, v19, s[2:3]
	v_cndmask_b32_e64 v16, v10, v18, s[2:3]
	v_fma_f64 v[14:15], -v[20:21], v[16:17], v[14:15]
	s_and_b64 vcc, exec, s[4:5]
	v_cndmask_b32_e64 v17, v34, v36, s[2:3]
	v_cndmask_b32_e64 v16, v8, v35, s[2:3]
	v_fma_f64 v[12:13], -v[20:21], v[16:17], v[12:13]
	v_cndmask_b32_e64 v17, v38, v40, s[2:3]
	v_cndmask_b32_e64 v16, v4, v39, s[2:3]
	v_fma_f64 v[16:17], -v[20:21], v[16:17], v[0:1]
	s_cbranch_vccnz .LBB4_56
; %bb.55:                               ;   in Loop: Header=BB4_48 Depth=1
	global_load_dword v0, v23, s[16:17]
	s_waitcnt vmcnt(0)
	v_cvt_f64_f32_e32 v[0:1], v0
	global_store_dwordx4 v[26:27], v[12:15], off
	v_div_scale_f64 v[18:19], s[6:7], v[0:1], v[0:1], v[6:7]
	v_rcp_f64_e32 v[33:34], v[18:19]
	v_fma_f64 v[35:36], -v[18:19], v[33:34], 1.0
	v_fma_f64 v[33:34], v[33:34], v[35:36], v[33:34]
	v_div_scale_f64 v[35:36], vcc, v[6:7], v[0:1], v[6:7]
	v_fma_f64 v[37:38], -v[18:19], v[33:34], 1.0
	v_fma_f64 v[33:34], v[33:34], v[37:38], v[33:34]
	v_mul_f64 v[37:38], v[35:36], v[33:34]
	v_fma_f64 v[18:19], -v[18:19], v[37:38], v[35:36]
	v_div_fmas_f64 v[18:19], v[18:19], v[33:34], v[37:38]
	v_mov_b32_e32 v33, v4
	v_mov_b32_e32 v34, v5
	v_div_fixup_f64 v[35:36], v[18:19], v[0:1], v[6:7]
	v_xor_b32_e32 v1, 0x80000000, v36
	v_mov_b32_e32 v0, v35
	v_cndmask_b32_e64 v1, v36, v1, s[0:1]
	v_fma_f64 v[18:19], s[18:19], v[2:3], v[0:1]
	v_cndmask_b32_e64 v1, v1, v19, s[2:3]
	v_cndmask_b32_e64 v0, v35, v18, s[2:3]
	v_fma_f64 v[18:19], -v[20:21], v[0:1], v[2:3]
	global_store_dwordx4 v[26:27], v[16:19], off offset:16
	global_store_dwordx4 v[28:29], v[8:11], off
	global_store_dwordx4 v[28:29], v[33:36], off offset:16
	s_cbranch_execnz .LBB4_47
	s_branch .LBB4_57
.LBB4_56:                               ;   in Loop: Header=BB4_48 Depth=1
.LBB4_57:                               ;   in Loop: Header=BB4_48 Depth=1
	v_xor_b32_e32 v0, 0x80000000, v7
	v_cndmask_b32_e64 v7, v7, v0, s[0:1]
	v_fma_f64 v[0:1], s[18:19], v[2:3], v[6:7]
	v_cndmask_b32_e64 v1, v7, v1, s[2:3]
	v_cndmask_b32_e64 v0, v6, v0, s[2:3]
	v_fma_f64 v[18:19], -v[20:21], v[0:1], v[2:3]
	global_store_dwordx4 v[26:27], v[12:15], off
	global_store_dwordx4 v[26:27], v[16:19], off offset:16
	s_branch .LBB4_47
.LBB4_58:
	s_endpgm
	.section	.rodata,"a",@progbits
	.p2align	6, 0x0
	.amdhsa_kernel _ZN2at6native12_GLOBAL__N_125multi_tensor_apply_kernelINS1_18TensorListMetadataILi2EEENS1_19FusedSgdMathFunctorIdLi2EEEJddPfddbbbS7_S7_EEEvT_T0_DpT1_
		.amdhsa_group_segment_fixed_size 0
		.amdhsa_private_segment_fixed_size 0
		.amdhsa_kernarg_size 3472
		.amdhsa_user_sgpr_count 6
		.amdhsa_user_sgpr_private_segment_buffer 1
		.amdhsa_user_sgpr_dispatch_ptr 0
		.amdhsa_user_sgpr_queue_ptr 0
		.amdhsa_user_sgpr_kernarg_segment_ptr 1
		.amdhsa_user_sgpr_dispatch_id 0
		.amdhsa_user_sgpr_flat_scratch_init 0
		.amdhsa_user_sgpr_private_segment_size 0
		.amdhsa_uses_dynamic_stack 0
		.amdhsa_system_sgpr_private_segment_wavefront_offset 0
		.amdhsa_system_sgpr_workgroup_id_x 1
		.amdhsa_system_sgpr_workgroup_id_y 0
		.amdhsa_system_sgpr_workgroup_id_z 0
		.amdhsa_system_sgpr_workgroup_info 0
		.amdhsa_system_vgpr_workitem_id 0
		.amdhsa_next_free_vgpr 51
		.amdhsa_next_free_sgpr 39
		.amdhsa_reserve_vcc 1
		.amdhsa_reserve_flat_scratch 0
		.amdhsa_float_round_mode_32 0
		.amdhsa_float_round_mode_16_64 0
		.amdhsa_float_denorm_mode_32 3
		.amdhsa_float_denorm_mode_16_64 3
		.amdhsa_dx10_clamp 1
		.amdhsa_ieee_mode 1
		.amdhsa_fp16_overflow 0
		.amdhsa_exception_fp_ieee_invalid_op 0
		.amdhsa_exception_fp_denorm_src 0
		.amdhsa_exception_fp_ieee_div_zero 0
		.amdhsa_exception_fp_ieee_overflow 0
		.amdhsa_exception_fp_ieee_underflow 0
		.amdhsa_exception_fp_ieee_inexact 0
		.amdhsa_exception_int_div_zero 0
	.end_amdhsa_kernel
	.section	.text._ZN2at6native12_GLOBAL__N_125multi_tensor_apply_kernelINS1_18TensorListMetadataILi2EEENS1_19FusedSgdMathFunctorIdLi2EEEJddPfddbbbS7_S7_EEEvT_T0_DpT1_,"axG",@progbits,_ZN2at6native12_GLOBAL__N_125multi_tensor_apply_kernelINS1_18TensorListMetadataILi2EEENS1_19FusedSgdMathFunctorIdLi2EEEJddPfddbbbS7_S7_EEEvT_T0_DpT1_,comdat
.Lfunc_end4:
	.size	_ZN2at6native12_GLOBAL__N_125multi_tensor_apply_kernelINS1_18TensorListMetadataILi2EEENS1_19FusedSgdMathFunctorIdLi2EEEJddPfddbbbS7_S7_EEEvT_T0_DpT1_, .Lfunc_end4-_ZN2at6native12_GLOBAL__N_125multi_tensor_apply_kernelINS1_18TensorListMetadataILi2EEENS1_19FusedSgdMathFunctorIdLi2EEEJddPfddbbbS7_S7_EEEvT_T0_DpT1_
                                        ; -- End function
	.set _ZN2at6native12_GLOBAL__N_125multi_tensor_apply_kernelINS1_18TensorListMetadataILi2EEENS1_19FusedSgdMathFunctorIdLi2EEEJddPfddbbbS7_S7_EEEvT_T0_DpT1_.num_vgpr, 51
	.set _ZN2at6native12_GLOBAL__N_125multi_tensor_apply_kernelINS1_18TensorListMetadataILi2EEENS1_19FusedSgdMathFunctorIdLi2EEEJddPfddbbbS7_S7_EEEvT_T0_DpT1_.num_agpr, 0
	.set _ZN2at6native12_GLOBAL__N_125multi_tensor_apply_kernelINS1_18TensorListMetadataILi2EEENS1_19FusedSgdMathFunctorIdLi2EEEJddPfddbbbS7_S7_EEEvT_T0_DpT1_.numbered_sgpr, 39
	.set _ZN2at6native12_GLOBAL__N_125multi_tensor_apply_kernelINS1_18TensorListMetadataILi2EEENS1_19FusedSgdMathFunctorIdLi2EEEJddPfddbbbS7_S7_EEEvT_T0_DpT1_.num_named_barrier, 0
	.set _ZN2at6native12_GLOBAL__N_125multi_tensor_apply_kernelINS1_18TensorListMetadataILi2EEENS1_19FusedSgdMathFunctorIdLi2EEEJddPfddbbbS7_S7_EEEvT_T0_DpT1_.private_seg_size, 0
	.set _ZN2at6native12_GLOBAL__N_125multi_tensor_apply_kernelINS1_18TensorListMetadataILi2EEENS1_19FusedSgdMathFunctorIdLi2EEEJddPfddbbbS7_S7_EEEvT_T0_DpT1_.uses_vcc, 1
	.set _ZN2at6native12_GLOBAL__N_125multi_tensor_apply_kernelINS1_18TensorListMetadataILi2EEENS1_19FusedSgdMathFunctorIdLi2EEEJddPfddbbbS7_S7_EEEvT_T0_DpT1_.uses_flat_scratch, 0
	.set _ZN2at6native12_GLOBAL__N_125multi_tensor_apply_kernelINS1_18TensorListMetadataILi2EEENS1_19FusedSgdMathFunctorIdLi2EEEJddPfddbbbS7_S7_EEEvT_T0_DpT1_.has_dyn_sized_stack, 0
	.set _ZN2at6native12_GLOBAL__N_125multi_tensor_apply_kernelINS1_18TensorListMetadataILi2EEENS1_19FusedSgdMathFunctorIdLi2EEEJddPfddbbbS7_S7_EEEvT_T0_DpT1_.has_recursion, 0
	.set _ZN2at6native12_GLOBAL__N_125multi_tensor_apply_kernelINS1_18TensorListMetadataILi2EEENS1_19FusedSgdMathFunctorIdLi2EEEJddPfddbbbS7_S7_EEEvT_T0_DpT1_.has_indirect_call, 0
	.section	.AMDGPU.csdata,"",@progbits
; Kernel info:
; codeLenInByte = 3092
; TotalNumSgprs: 43
; NumVgprs: 51
; ScratchSize: 0
; MemoryBound: 1
; FloatMode: 240
; IeeeMode: 1
; LDSByteSize: 0 bytes/workgroup (compile time only)
; SGPRBlocks: 5
; VGPRBlocks: 12
; NumSGPRsForWavesPerEU: 43
; NumVGPRsForWavesPerEU: 51
; Occupancy: 4
; WaveLimiterHint : 0
; COMPUTE_PGM_RSRC2:SCRATCH_EN: 0
; COMPUTE_PGM_RSRC2:USER_SGPR: 6
; COMPUTE_PGM_RSRC2:TRAP_HANDLER: 0
; COMPUTE_PGM_RSRC2:TGID_X_EN: 1
; COMPUTE_PGM_RSRC2:TGID_Y_EN: 0
; COMPUTE_PGM_RSRC2:TGID_Z_EN: 0
; COMPUTE_PGM_RSRC2:TIDIG_COMP_CNT: 0
	.section	.text._ZN2at6native12_GLOBAL__N_125multi_tensor_apply_kernelINS1_18TensorListMetadataILi2EEENS1_19FusedSgdMathFunctorIfLi2EEEJddPfddbbbS7_S7_EEEvT_T0_DpT1_,"axG",@progbits,_ZN2at6native12_GLOBAL__N_125multi_tensor_apply_kernelINS1_18TensorListMetadataILi2EEENS1_19FusedSgdMathFunctorIfLi2EEEJddPfddbbbS7_S7_EEEvT_T0_DpT1_,comdat
	.globl	_ZN2at6native12_GLOBAL__N_125multi_tensor_apply_kernelINS1_18TensorListMetadataILi2EEENS1_19FusedSgdMathFunctorIfLi2EEEJddPfddbbbS7_S7_EEEvT_T0_DpT1_ ; -- Begin function _ZN2at6native12_GLOBAL__N_125multi_tensor_apply_kernelINS1_18TensorListMetadataILi2EEENS1_19FusedSgdMathFunctorIfLi2EEEJddPfddbbbS7_S7_EEEvT_T0_DpT1_
	.p2align	8
	.type	_ZN2at6native12_GLOBAL__N_125multi_tensor_apply_kernelINS1_18TensorListMetadataILi2EEENS1_19FusedSgdMathFunctorIfLi2EEEJddPfddbbbS7_S7_EEEvT_T0_DpT1_,@function
_ZN2at6native12_GLOBAL__N_125multi_tensor_apply_kernelINS1_18TensorListMetadataILi2EEENS1_19FusedSgdMathFunctorIfLi2EEEJddPfddbbbS7_S7_EEEvT_T0_DpT1_: ; @_ZN2at6native12_GLOBAL__N_125multi_tensor_apply_kernelINS1_18TensorListMetadataILi2EEENS1_19FusedSgdMathFunctorIfLi2EEEJddPfddbbbS7_S7_EEEvT_T0_DpT1_
; %bb.0:
	s_load_dwordx4 s[16:19], s[4:5], 0xc80
	s_waitcnt lgkmcnt(0)
	s_cmp_eq_u64 s[18:19], 0
	s_cselect_b64 s[0:1], -1, 0
	s_and_b64 vcc, exec, s[0:1]
	s_cbranch_vccnz .LBB5_2
; %bb.1:
	s_load_dword s0, s[18:19], 0x0
	s_waitcnt lgkmcnt(0)
	v_cmp_neq_f32_e64 s[0:1], s0, 1.0
.LBB5_2:
	s_andn2_b64 vcc, exec, s[0:1]
	s_cbranch_vccnz .LBB5_59
; %bb.3:
	v_mov_b32_e32 v1, s6
	global_load_ubyte v1, v1, s[4:5] offset:1536
	s_load_dwordx4 s[0:3], s[4:5], 0xc60
	s_add_u32 s7, s4, s6
	s_mul_hi_u32 s8, s6, 3
	s_mul_i32 s6, s6, 3
	s_addc_u32 s9, s5, 0
	s_add_u32 s6, s7, s6
	s_addc_u32 s7, s9, s8
	s_waitcnt lgkmcnt(0)
	s_cmp_eq_u64 s[0:1], 0
	s_mov_b64 s[8:9], 0
	s_waitcnt vmcnt(0)
	v_readfirstlane_b32 s10, v1
	s_cbranch_scc1 .LBB5_60
; %bb.4:
	s_load_dword s1, s[0:1], 0x0
	s_nop 0
	s_load_dword s0, s[6:7], 0x740
	s_andn2_b64 vcc, exec, s[8:9]
	s_waitcnt lgkmcnt(0)
	v_mov_b32_e32 v20, s1
	s_cbranch_vccnz .LBB5_6
.LBB5_5:
	v_cvt_f32_f64_e32 v20, s[2:3]
.LBB5_6:
	s_load_dword s1, s[4:5], 0xc78
	s_load_dwordx2 s[2:3], s[4:5], 0xc50
	s_waitcnt lgkmcnt(0)
	s_bitcmp1_b32 s1, 8
	s_cselect_b64 s[14:15], -1, 0
	s_and_b32 s6, s10, 0xff
	s_lshl_b32 s12, s6, 3
	s_load_dwordx2 s[8:9], s[4:5], s12 offset:0x400
	s_ashr_i32 s1, s0, 31
	v_cvt_f32_f64_e32 v21, s[2:3]
	s_load_dwordx2 s[2:3], s[4:5], s12 offset:0x0
	s_load_dwordx2 s[6:7], s[4:5], s12 offset:0x200
	s_lshl_b64 s[10:11], s[0:1], 16
	s_waitcnt lgkmcnt(0)
	s_sub_u32 s18, s8, s10
	s_subb_u32 s19, s9, s11
	s_lshl_b64 s[20:21], s[0:1], 18
	s_add_u32 s30, s2, s20
	s_addc_u32 s33, s3, s21
	s_and_b32 s0, s30, 15
	s_mov_b32 s1, 0
	s_add_u32 s31, s6, s20
	s_addc_u32 s34, s7, s21
	s_and_b32 s10, s31, 15
	s_mov_b32 s11, s1
	s_and_b32 s8, s8, 3
	s_mov_b32 s9, s1
	s_or_b64 s[8:9], s[8:9], s[10:11]
	s_or_b64 s[0:1], s[8:9], s[0:1]
	s_cmp_eq_u64 s[0:1], 0
	s_mov_b64 s[0:1], -1
	s_cbranch_scc1 .LBB5_45
; %bb.7:
	v_cmp_lt_i64_e64 s[0:1], s[18:19], 1
	s_and_b64 vcc, exec, s[0:1]
	s_cbranch_vccnz .LBB5_44
; %bb.8:
	v_mov_b32_e32 v1, 0x10000
	s_load_dword s8, s[4:5], 0xc9c
	v_mov_b32_e32 v2, 0
	v_cmp_lt_i64_e32 vcc, s[18:19], v[1:2]
	v_mov_b32_e32 v2, 0
	s_and_b64 s[0:1], vcc, exec
	s_cselect_b32 s23, s19, 0
	s_cselect_b32 s22, s18, 0x10000
	s_waitcnt lgkmcnt(0)
	s_and_b32 s10, s8, 0xffff
	v_lshlrev_b32_e32 v1, 2, v0
	v_mov_b32_e32 v4, s3
	v_add_co_u32_e32 v3, vcc, s2, v1
	v_mad_u64_u32 v[9:10], s[8:9], s10, 12, v[1:2]
	v_addc_co_u32_e32 v4, vcc, 0, v4, vcc
	v_mov_b32_e32 v6, s7
	v_add_co_u32_e32 v5, vcc, s6, v1
	v_addc_co_u32_e32 v6, vcc, 0, v6, vcc
	v_mov_b32_e32 v8, s3
	v_add_co_u32_e32 v7, vcc, s2, v9
	s_lshl_b32 s11, s10, 1
	v_addc_co_u32_e32 v8, vcc, v8, v10, vcc
	s_cmp_lg_u64 s[16:17], 0
	v_mov_b32_e32 v11, s7
	v_add_co_u32_e32 v9, vcc, s6, v9
	s_cselect_b64 s[26:27], -1, 0
	v_addc_co_u32_e32 v10, vcc, v11, v10, vcc
	s_lshl_b32 s8, s10, 3
	v_add_co_u32_e32 v12, vcc, s8, v1
	v_addc_co_u32_e64 v13, s[8:9], 0, 0, vcc
	v_mov_b32_e32 v11, s3
	v_add_co_u32_e32 v1, vcc, s2, v12
	v_addc_co_u32_e32 v11, vcc, v11, v13, vcc
	v_mov_b32_e32 v14, s7
	v_add_co_u32_e32 v12, vcc, s6, v12
	v_addc_co_u32_e32 v13, vcc, v14, v13, vcc
	v_add_co_u32_e32 v14, vcc, s10, v0
	v_lshlrev_b32_e32 v18, 2, v14
	v_addc_co_u32_e64 v15, s[8:9], 0, 0, vcc
	v_mov_b32_e32 v17, s3
	v_add_co_u32_e32 v16, vcc, s2, v18
	v_addc_co_u32_e32 v17, vcc, 0, v17, vcc
	v_mov_b32_e32 v19, s7
	v_add_co_u32_e32 v18, vcc, s6, v18
	s_mul_i32 s12, s10, 3
	v_addc_co_u32_e32 v19, vcc, 0, v19, vcc
	v_add_co_u32_e32 v22, vcc, s12, v0
	v_addc_co_u32_e64 v23, s[2:3], 0, 0, vcc
	v_add_co_u32_e32 v24, vcc, s11, v0
	s_mov_b64 s[24:25], 0
	v_cmp_neq_f32_e64 s[0:1], 0, v21
	s_lshl_b32 s35, s10, 2
	s_lshl_b32 s36, s10, 4
	v_addc_co_u32_e64 v25, s[2:3], 0, 0, vcc
	s_branch .LBB5_11
.LBB5_9:                                ;   in Loop: Header=BB5_11 Depth=1
	s_or_b64 exec, exec, s[2:3]
.LBB5_10:                               ;   in Loop: Header=BB5_11 Depth=1
	v_add_co_u32_e32 v3, vcc, s36, v3
	v_addc_co_u32_e32 v4, vcc, 0, v4, vcc
	v_add_co_u32_e32 v5, vcc, s36, v5
	v_addc_co_u32_e32 v6, vcc, 0, v6, vcc
	;; [unrolled: 2-line block ×6, first 2 shown]
	s_add_u32 s24, s24, s35
	v_add_co_u32_e32 v16, vcc, s36, v16
	s_waitcnt vmcnt(0)
	v_mov_b32_e32 v27, s23
	s_addc_u32 s25, s25, 0
	v_addc_co_u32_e32 v17, vcc, 0, v17, vcc
	v_mov_b32_e32 v26, s22
	v_cmp_lt_i64_e32 vcc, s[24:25], v[26:27]
	v_add_co_u32_e64 v18, s[2:3], s36, v18
	v_addc_co_u32_e64 v19, s[2:3], 0, v19, s[2:3]
	s_cbranch_vccz .LBB5_44
.LBB5_11:                               ; =>This Inner Loop Header: Depth=1
	v_mov_b32_e32 v27, s25
	v_add_co_u32_e32 v26, vcc, s24, v0
	v_addc_co_u32_e32 v27, vcc, 0, v27, vcc
	v_cmp_gt_i64_e64 s[2:3], s[22:23], v[26:27]
	v_mov_b32_e32 v26, 0
	v_mov_b32_e32 v30, 0
	s_and_saveexec_b64 s[6:7], s[2:3]
	s_cbranch_execz .LBB5_13
; %bb.12:                               ;   in Loop: Header=BB5_11 Depth=1
	v_mov_b32_e32 v26, s21
	v_add_co_u32_e32 v27, vcc, s20, v5
	v_addc_co_u32_e32 v28, vcc, v6, v26, vcc
	v_add_co_u32_e32 v31, vcc, s20, v3
	v_addc_co_u32_e32 v32, vcc, v4, v26, vcc
	global_load_dword v30, v[31:32], off
	global_load_dword v26, v[27:28], off
.LBB5_13:                               ;   in Loop: Header=BB5_11 Depth=1
	s_or_b64 exec, exec, s[6:7]
	v_mov_b32_e32 v28, s25
	v_add_co_u32_e32 v27, vcc, s24, v14
	v_addc_co_u32_e32 v28, vcc, v15, v28, vcc
	v_cmp_gt_i64_e64 s[6:7], s[22:23], v[27:28]
	v_mov_b32_e32 v27, 0
	v_mov_b32_e32 v28, 0
	;; [unrolled: 1-line block ×3, first 2 shown]
	s_and_saveexec_b64 s[8:9], s[6:7]
	s_cbranch_execz .LBB5_15
; %bb.14:                               ;   in Loop: Header=BB5_11 Depth=1
	v_mov_b32_e32 v28, s21
	v_add_co_u32_e32 v32, vcc, s20, v18
	v_addc_co_u32_e32 v33, vcc, v19, v28, vcc
	v_add_co_u32_e32 v34, vcc, s20, v16
	v_addc_co_u32_e32 v35, vcc, v17, v28, vcc
	global_load_dword v31, v[34:35], off
	global_load_dword v28, v[32:33], off
.LBB5_15:                               ;   in Loop: Header=BB5_11 Depth=1
	s_or_b64 exec, exec, s[8:9]
	v_mov_b32_e32 v29, s25
	v_add_co_u32_e32 v32, vcc, s24, v24
	v_addc_co_u32_e32 v33, vcc, v25, v29, vcc
	v_cmp_gt_i64_e64 s[8:9], s[22:23], v[32:33]
	v_mov_b32_e32 v32, 0
	s_and_saveexec_b64 s[10:11], s[8:9]
	s_cbranch_execz .LBB5_17
; %bb.16:                               ;   in Loop: Header=BB5_11 Depth=1
	v_mov_b32_e32 v27, s21
	v_add_co_u32_e32 v33, vcc, s20, v12
	v_addc_co_u32_e32 v34, vcc, v13, v27, vcc
	v_add_co_u32_e32 v35, vcc, s20, v1
	v_addc_co_u32_e32 v36, vcc, v11, v27, vcc
	global_load_dword v32, v[35:36], off
	global_load_dword v27, v[33:34], off
.LBB5_17:                               ;   in Loop: Header=BB5_11 Depth=1
	s_or_b64 exec, exec, s[10:11]
	v_mov_b32_e32 v29, s25
	v_add_co_u32_e32 v33, vcc, s24, v22
	v_addc_co_u32_e32 v34, vcc, v23, v29, vcc
	v_cmp_gt_i64_e64 s[10:11], s[22:23], v[33:34]
	v_mov_b32_e32 v29, 0
	v_mov_b32_e32 v33, 0
	s_and_saveexec_b64 s[12:13], s[10:11]
	s_cbranch_execz .LBB5_19
; %bb.18:                               ;   in Loop: Header=BB5_11 Depth=1
	v_mov_b32_e32 v29, s21
	v_add_co_u32_e32 v34, vcc, s20, v9
	v_addc_co_u32_e32 v35, vcc, v10, v29, vcc
	v_add_co_u32_e32 v36, vcc, s20, v7
	v_addc_co_u32_e32 v37, vcc, v8, v29, vcc
	global_load_dword v33, v[36:37], off
	global_load_dword v29, v[34:35], off
.LBB5_19:                               ;   in Loop: Header=BB5_11 Depth=1
	s_or_b64 exec, exec, s[12:13]
	v_cndmask_b32_e64 v34, 0, 1, s[26:27]
	v_cmp_ne_u32_e64 s[12:13], 1, v34
	s_andn2_b64 vcc, exec, s[26:27]
	s_cbranch_vccnz .LBB5_21
; %bb.20:                               ;   in Loop: Header=BB5_11 Depth=1
	global_load_dword v34, v2, s[16:17]
	s_waitcnt vmcnt(0)
	v_div_scale_f32 v35, s[28:29], v34, v34, v26
	v_div_scale_f32 v36, vcc, v26, v34, v26
	v_rcp_f32_e32 v37, v35
	v_fma_f32 v38, -v35, v37, 1.0
	v_fmac_f32_e32 v37, v38, v37
	v_mul_f32_e32 v38, v36, v37
	v_fma_f32 v39, -v35, v38, v36
	v_fmac_f32_e32 v38, v39, v37
	v_fma_f32 v35, -v35, v38, v36
	v_div_fmas_f32 v35, v35, v37, v38
	v_div_fixup_f32 v26, v35, v34, v26
.LBB5_21:                               ;   in Loop: Header=BB5_11 Depth=1
	s_and_b64 vcc, exec, s[12:13]
	s_cbranch_vccnz .LBB5_23
; %bb.22:                               ;   in Loop: Header=BB5_11 Depth=1
	global_load_dword v34, v2, s[16:17]
	s_waitcnt vmcnt(0)
	v_div_scale_f32 v35, s[28:29], v34, v34, v28
	v_div_scale_f32 v36, vcc, v28, v34, v28
	v_rcp_f32_e32 v37, v35
	v_fma_f32 v38, -v35, v37, 1.0
	v_fmac_f32_e32 v37, v38, v37
	v_mul_f32_e32 v38, v36, v37
	v_fma_f32 v39, -v35, v38, v36
	v_fmac_f32_e32 v38, v39, v37
	v_fma_f32 v35, -v35, v38, v36
	v_div_fmas_f32 v35, v35, v37, v38
	v_div_fixup_f32 v28, v35, v34, v28
.LBB5_23:                               ;   in Loop: Header=BB5_11 Depth=1
	s_and_b64 vcc, exec, s[12:13]
	;; [unrolled: 17-line block ×3, first 2 shown]
	s_cbranch_vccnz .LBB5_27
; %bb.26:                               ;   in Loop: Header=BB5_11 Depth=1
	global_load_dword v34, v2, s[16:17]
	s_waitcnt vmcnt(0)
	v_div_scale_f32 v35, s[28:29], v34, v34, v29
	v_div_scale_f32 v36, vcc, v29, v34, v29
	v_rcp_f32_e32 v37, v35
	v_fma_f32 v38, -v35, v37, 1.0
	v_fmac_f32_e32 v37, v38, v37
	v_mul_f32_e32 v38, v36, v37
	v_fma_f32 v39, -v35, v38, v36
	v_fmac_f32_e32 v38, v39, v37
	v_fma_f32 v35, -v35, v38, v36
	v_div_fmas_f32 v35, v35, v37, v38
	v_div_fixup_f32 v29, v35, v34, v29
.LBB5_27:                               ;   in Loop: Header=BB5_11 Depth=1
	s_and_saveexec_b64 s[28:29], s[2:3]
	s_cbranch_execnz .LBB5_32
; %bb.28:                               ;   in Loop: Header=BB5_11 Depth=1
	s_or_b64 exec, exec, s[28:29]
	s_and_saveexec_b64 s[28:29], s[6:7]
	s_cbranch_execnz .LBB5_33
.LBB5_29:                               ;   in Loop: Header=BB5_11 Depth=1
	s_or_b64 exec, exec, s[28:29]
	s_and_saveexec_b64 s[28:29], s[8:9]
	s_cbranch_execnz .LBB5_34
.LBB5_30:                               ;   in Loop: Header=BB5_11 Depth=1
	s_or_b64 exec, exec, s[28:29]
	s_and_saveexec_b64 s[28:29], s[10:11]
	s_cbranch_execnz .LBB5_35
.LBB5_31:                               ;   in Loop: Header=BB5_11 Depth=1
	s_or_b64 exec, exec, s[28:29]
	s_and_b64 vcc, exec, s[12:13]
	s_cbranch_vccz .LBB5_36
	s_branch .LBB5_10
.LBB5_32:                               ;   in Loop: Header=BB5_11 Depth=1
	s_waitcnt vmcnt(0)
	v_cndmask_b32_e64 v34, v26, -v26, s[14:15]
	v_fma_f32 v35, v30, v21, v34
	v_cndmask_b32_e64 v34, v34, v35, s[0:1]
	v_fma_f32 v30, -v20, v34, v30
	v_mov_b32_e32 v35, s21
	v_add_co_u32_e32 v34, vcc, s20, v3
	v_addc_co_u32_e32 v35, vcc, v4, v35, vcc
	global_store_dword v[34:35], v30, off
	s_or_b64 exec, exec, s[28:29]
	s_and_saveexec_b64 s[28:29], s[6:7]
	s_cbranch_execz .LBB5_29
.LBB5_33:                               ;   in Loop: Header=BB5_11 Depth=1
	s_waitcnt vmcnt(0)
	v_cndmask_b32_e64 v30, v28, -v28, s[14:15]
	v_fma_f32 v34, v31, v21, v30
	v_cndmask_b32_e64 v30, v30, v34, s[0:1]
	v_fma_f32 v34, -v20, v30, v31
	v_mov_b32_e32 v31, s21
	v_add_co_u32_e32 v30, vcc, s20, v16
	v_addc_co_u32_e32 v31, vcc, v17, v31, vcc
	global_store_dword v[30:31], v34, off
	s_or_b64 exec, exec, s[28:29]
	s_and_saveexec_b64 s[28:29], s[8:9]
	s_cbranch_execz .LBB5_30
.LBB5_34:                               ;   in Loop: Header=BB5_11 Depth=1
	s_waitcnt vmcnt(0)
	v_cndmask_b32_e64 v30, v27, -v27, s[14:15]
	v_fma_f32 v31, v32, v21, v30
	v_cndmask_b32_e64 v30, v30, v31, s[0:1]
	v_fma_f32 v32, -v20, v30, v32
	v_mov_b32_e32 v31, s21
	v_add_co_u32_e32 v30, vcc, s20, v1
	v_addc_co_u32_e32 v31, vcc, v11, v31, vcc
	global_store_dword v[30:31], v32, off
	s_or_b64 exec, exec, s[28:29]
	s_and_saveexec_b64 s[28:29], s[10:11]
	s_cbranch_execz .LBB5_31
.LBB5_35:                               ;   in Loop: Header=BB5_11 Depth=1
	s_waitcnt vmcnt(0)
	v_cndmask_b32_e64 v30, v29, -v29, s[14:15]
	v_fma_f32 v31, v33, v21, v30
	v_cndmask_b32_e64 v30, v30, v31, s[0:1]
	v_fma_f32 v32, -v20, v30, v33
	v_mov_b32_e32 v31, s21
	v_add_co_u32_e32 v30, vcc, s20, v7
	v_addc_co_u32_e32 v31, vcc, v8, v31, vcc
	global_store_dword v[30:31], v32, off
	s_or_b64 exec, exec, s[28:29]
	s_and_b64 vcc, exec, s[12:13]
	s_cbranch_vccnz .LBB5_10
.LBB5_36:                               ;   in Loop: Header=BB5_11 Depth=1
	s_and_saveexec_b64 s[12:13], s[2:3]
	s_cbranch_execnz .LBB5_40
; %bb.37:                               ;   in Loop: Header=BB5_11 Depth=1
	s_or_b64 exec, exec, s[12:13]
	s_and_saveexec_b64 s[2:3], s[6:7]
	s_cbranch_execnz .LBB5_41
.LBB5_38:                               ;   in Loop: Header=BB5_11 Depth=1
	s_or_b64 exec, exec, s[2:3]
	s_and_saveexec_b64 s[2:3], s[8:9]
	s_cbranch_execnz .LBB5_42
.LBB5_39:                               ;   in Loop: Header=BB5_11 Depth=1
	s_or_b64 exec, exec, s[2:3]
	s_and_saveexec_b64 s[2:3], s[10:11]
	s_cbranch_execz .LBB5_9
	s_branch .LBB5_43
.LBB5_40:                               ;   in Loop: Header=BB5_11 Depth=1
	s_waitcnt vmcnt(1)
	v_mov_b32_e32 v31, s21
	v_add_co_u32_e32 v30, vcc, s20, v5
	v_addc_co_u32_e32 v31, vcc, v6, v31, vcc
	s_waitcnt vmcnt(0)
	global_store_dword v[30:31], v26, off
	s_or_b64 exec, exec, s[12:13]
	s_and_saveexec_b64 s[2:3], s[6:7]
	s_cbranch_execz .LBB5_38
.LBB5_41:                               ;   in Loop: Header=BB5_11 Depth=1
	s_waitcnt vmcnt(0)
	v_mov_b32_e32 v26, s21
	v_add_co_u32_e32 v30, vcc, s20, v18
	v_addc_co_u32_e32 v31, vcc, v19, v26, vcc
	global_store_dword v[30:31], v28, off
	s_or_b64 exec, exec, s[2:3]
	s_and_saveexec_b64 s[2:3], s[8:9]
	s_cbranch_execz .LBB5_39
.LBB5_42:                               ;   in Loop: Header=BB5_11 Depth=1
	s_waitcnt vmcnt(0)
	v_mov_b32_e32 v26, s21
	v_add_co_u32_e32 v30, vcc, s20, v12
	v_addc_co_u32_e32 v31, vcc, v13, v26, vcc
	global_store_dword v[30:31], v27, off
	s_or_b64 exec, exec, s[2:3]
	s_and_saveexec_b64 s[2:3], s[10:11]
	s_cbranch_execz .LBB5_9
.LBB5_43:                               ;   in Loop: Header=BB5_11 Depth=1
	s_waitcnt vmcnt(0)
	v_mov_b32_e32 v27, s21
	v_add_co_u32_e32 v26, vcc, s20, v9
	v_addc_co_u32_e32 v27, vcc, v10, v27, vcc
	global_store_dword v[26:27], v29, off
	s_branch .LBB5_9
.LBB5_44:
	s_mov_b64 s[0:1], 0
.LBB5_45:
	s_andn2_b64 vcc, exec, s[0:1]
	s_cbranch_vccnz .LBB5_59
; %bb.46:
	v_mov_b32_e32 v13, 0
	v_lshlrev_b32_e32 v12, 2, v0
	v_cmp_gt_i64_e32 vcc, s[18:19], v[12:13]
	s_and_saveexec_b64 s[0:1], vcc
	s_cbranch_execz .LBB5_59
; %bb.47:
	s_load_dword s4, s[4:5], 0xc9c
	s_cmp_lg_u64 s[16:17], 0
	s_cselect_b64 s[2:3], -1, 0
	v_cndmask_b32_e64 v2, 0, 1, s[2:3]
	v_mov_b32_e32 v1, v13
	s_waitcnt lgkmcnt(0)
	s_and_b32 s8, s4, 0xffff
	v_add_lshl_u32 v12, v0, s8, 2
	v_mov_b32_e32 v15, v13
	s_mov_b64 s[6:7], 0
	v_cmp_neq_f32_e64 s[0:1], 0, v21
	v_add_u32_e32 v22, s8, v0
	s_lshl_b32 s9, s8, 2
	v_mov_b32_e32 v23, s33
	v_mov_b32_e32 v24, s34
	v_cmp_ne_u32_e64 s[2:3], 1, v2
	s_movk_i32 s10, 0x3fff
	v_mov_b32_e32 v14, v12
	v_mov_b32_e32 v12, v0
	s_branch .LBB5_49
.LBB5_48:                               ;   in Loop: Header=BB5_49 Depth=1
	v_cmp_le_u64_e32 vcc, s[18:19], v[14:15]
	v_cmp_lt_u32_e64 s[4:5], s10, v22
	v_add_u32_e32 v12, s8, v12
	s_or_b64 s[4:5], vcc, s[4:5]
	v_add_co_u32_e32 v14, vcc, s9, v14
	s_and_b64 s[4:5], exec, s[4:5]
	v_mov_b32_e32 v0, v12
	v_add_u32_e32 v22, s8, v22
	v_addc_co_u32_e32 v15, vcc, 0, v15, vcc
	s_or_b64 s[6:7], s[4:5], s[6:7]
	v_mov_b32_e32 v1, v13
	s_andn2_b64 exec, exec, s[6:7]
	s_cbranch_execz .LBB5_59
.LBB5_49:                               ; =>This Inner Loop Header: Depth=1
	v_lshlrev_b64 v[4:5], 4, v[0:1]
	v_add_co_u32_e32 v16, vcc, s30, v4
	v_addc_co_u32_e32 v17, vcc, v23, v5, vcc
	v_add_co_u32_e32 v18, vcc, s31, v4
	v_addc_co_u32_e32 v19, vcc, v24, v5, vcc
	global_load_dwordx4 v[0:3], v[16:17], off
	global_load_dwordx4 v[4:7], v[18:19], off
	s_and_b64 vcc, exec, s[2:3]
	s_cbranch_vccnz .LBB5_51
; %bb.50:                               ;   in Loop: Header=BB5_49 Depth=1
	global_load_dword v8, v13, s[16:17]
	s_waitcnt vmcnt(0)
	v_div_scale_f32 v9, s[4:5], v8, v8, v4
	v_div_scale_f32 v10, vcc, v4, v8, v4
	v_rcp_f32_e32 v11, v9
	v_fma_f32 v25, -v9, v11, 1.0
	v_fmac_f32_e32 v11, v25, v11
	v_mul_f32_e32 v25, v10, v11
	v_fma_f32 v26, -v9, v25, v10
	v_fmac_f32_e32 v25, v26, v11
	v_fma_f32 v9, -v9, v25, v10
	v_div_fmas_f32 v9, v9, v11, v25
	v_div_fixup_f32 v4, v9, v8, v4
.LBB5_51:                               ;   in Loop: Header=BB5_49 Depth=1
	s_and_b64 vcc, exec, s[2:3]
	s_cbranch_vccnz .LBB5_53
; %bb.52:                               ;   in Loop: Header=BB5_49 Depth=1
	global_load_dword v8, v13, s[16:17]
	s_waitcnt vmcnt(0)
	v_div_scale_f32 v9, s[4:5], v8, v8, v5
	v_div_scale_f32 v10, vcc, v5, v8, v5
	v_rcp_f32_e32 v11, v9
	v_fma_f32 v25, -v9, v11, 1.0
	v_fmac_f32_e32 v11, v25, v11
	v_mul_f32_e32 v25, v10, v11
	v_fma_f32 v26, -v9, v25, v10
	v_fmac_f32_e32 v25, v26, v11
	v_fma_f32 v9, -v9, v25, v10
	v_div_fmas_f32 v9, v9, v11, v25
	v_div_fixup_f32 v5, v9, v8, v5
.LBB5_53:                               ;   in Loop: Header=BB5_49 Depth=1
	;; [unrolled: 17-line block ×3, first 2 shown]
	s_waitcnt vmcnt(0)
	v_cndmask_b32_e64 v8, v5, -v5, s[14:15]
	v_fma_f32 v9, v1, v21, v8
	v_cndmask_b32_e64 v8, v8, v9, s[0:1]
	v_fma_f32 v9, -v20, v8, v1
	v_cndmask_b32_e64 v1, v4, -v4, s[14:15]
	v_fma_f32 v8, v0, v21, v1
	v_cndmask_b32_e64 v1, v1, v8, s[0:1]
	v_fma_f32 v8, -v20, v1, v0
	v_cndmask_b32_e64 v0, v6, -v6, s[14:15]
	v_fma_f32 v1, v2, v21, v0
	v_cndmask_b32_e64 v0, v0, v1, s[0:1]
	s_and_b64 vcc, exec, s[2:3]
	v_fma_f32 v10, -v20, v0, v2
	s_cbranch_vccnz .LBB5_57
; %bb.56:                               ;   in Loop: Header=BB5_49 Depth=1
	global_load_dword v0, v13, s[16:17]
	v_mov_b32_e32 v27, v6
	s_waitcnt vmcnt(0)
	v_div_scale_f32 v1, s[4:5], v0, v0, v7
	v_div_scale_f32 v2, vcc, v7, v0, v7
	v_rcp_f32_e32 v11, v1
	v_fma_f32 v25, -v1, v11, 1.0
	v_fmac_f32_e32 v11, v25, v11
	v_mul_f32_e32 v25, v2, v11
	v_fma_f32 v26, -v1, v25, v2
	v_fmac_f32_e32 v25, v26, v11
	v_fma_f32 v1, -v1, v25, v2
	v_div_fmas_f32 v1, v1, v11, v25
	v_mov_b32_e32 v25, v4
	v_mov_b32_e32 v26, v5
	v_div_fixup_f32 v28, v1, v0, v7
	v_cndmask_b32_e64 v0, v28, -v28, s[14:15]
	v_fma_f32 v1, v3, v21, v0
	v_cndmask_b32_e64 v0, v0, v1, s[0:1]
	v_fma_f32 v11, -v20, v0, v3
	global_store_dwordx4 v[16:17], v[8:11], off
	global_store_dwordx4 v[18:19], v[25:28], off
	s_cbranch_execnz .LBB5_48
	s_branch .LBB5_58
.LBB5_57:                               ;   in Loop: Header=BB5_49 Depth=1
.LBB5_58:                               ;   in Loop: Header=BB5_49 Depth=1
	v_cndmask_b32_e64 v0, v7, -v7, s[14:15]
	v_fma_f32 v1, v3, v21, v0
	v_cndmask_b32_e64 v0, v0, v1, s[0:1]
	v_fma_f32 v11, -v20, v0, v3
	global_store_dwordx4 v[16:17], v[8:11], off
	s_branch .LBB5_48
.LBB5_59:
	s_endpgm
.LBB5_60:
                                        ; implicit-def: $sgpr1
	s_load_dword s0, s[6:7], 0x740
	v_mov_b32_e32 v20, s1
	s_branch .LBB5_5
	.section	.rodata,"a",@progbits
	.p2align	6, 0x0
	.amdhsa_kernel _ZN2at6native12_GLOBAL__N_125multi_tensor_apply_kernelINS1_18TensorListMetadataILi2EEENS1_19FusedSgdMathFunctorIfLi2EEEJddPfddbbbS7_S7_EEEvT_T0_DpT1_
		.amdhsa_group_segment_fixed_size 0
		.amdhsa_private_segment_fixed_size 0
		.amdhsa_kernarg_size 3472
		.amdhsa_user_sgpr_count 6
		.amdhsa_user_sgpr_private_segment_buffer 1
		.amdhsa_user_sgpr_dispatch_ptr 0
		.amdhsa_user_sgpr_queue_ptr 0
		.amdhsa_user_sgpr_kernarg_segment_ptr 1
		.amdhsa_user_sgpr_dispatch_id 0
		.amdhsa_user_sgpr_flat_scratch_init 0
		.amdhsa_user_sgpr_private_segment_size 0
		.amdhsa_uses_dynamic_stack 0
		.amdhsa_system_sgpr_private_segment_wavefront_offset 0
		.amdhsa_system_sgpr_workgroup_id_x 1
		.amdhsa_system_sgpr_workgroup_id_y 0
		.amdhsa_system_sgpr_workgroup_id_z 0
		.amdhsa_system_sgpr_workgroup_info 0
		.amdhsa_system_vgpr_workitem_id 0
		.amdhsa_next_free_vgpr 40
		.amdhsa_next_free_sgpr 37
		.amdhsa_reserve_vcc 1
		.amdhsa_reserve_flat_scratch 0
		.amdhsa_float_round_mode_32 0
		.amdhsa_float_round_mode_16_64 0
		.amdhsa_float_denorm_mode_32 3
		.amdhsa_float_denorm_mode_16_64 3
		.amdhsa_dx10_clamp 1
		.amdhsa_ieee_mode 1
		.amdhsa_fp16_overflow 0
		.amdhsa_exception_fp_ieee_invalid_op 0
		.amdhsa_exception_fp_denorm_src 0
		.amdhsa_exception_fp_ieee_div_zero 0
		.amdhsa_exception_fp_ieee_overflow 0
		.amdhsa_exception_fp_ieee_underflow 0
		.amdhsa_exception_fp_ieee_inexact 0
		.amdhsa_exception_int_div_zero 0
	.end_amdhsa_kernel
	.section	.text._ZN2at6native12_GLOBAL__N_125multi_tensor_apply_kernelINS1_18TensorListMetadataILi2EEENS1_19FusedSgdMathFunctorIfLi2EEEJddPfddbbbS7_S7_EEEvT_T0_DpT1_,"axG",@progbits,_ZN2at6native12_GLOBAL__N_125multi_tensor_apply_kernelINS1_18TensorListMetadataILi2EEENS1_19FusedSgdMathFunctorIfLi2EEEJddPfddbbbS7_S7_EEEvT_T0_DpT1_,comdat
.Lfunc_end5:
	.size	_ZN2at6native12_GLOBAL__N_125multi_tensor_apply_kernelINS1_18TensorListMetadataILi2EEENS1_19FusedSgdMathFunctorIfLi2EEEJddPfddbbbS7_S7_EEEvT_T0_DpT1_, .Lfunc_end5-_ZN2at6native12_GLOBAL__N_125multi_tensor_apply_kernelINS1_18TensorListMetadataILi2EEENS1_19FusedSgdMathFunctorIfLi2EEEJddPfddbbbS7_S7_EEEvT_T0_DpT1_
                                        ; -- End function
	.set _ZN2at6native12_GLOBAL__N_125multi_tensor_apply_kernelINS1_18TensorListMetadataILi2EEENS1_19FusedSgdMathFunctorIfLi2EEEJddPfddbbbS7_S7_EEEvT_T0_DpT1_.num_vgpr, 40
	.set _ZN2at6native12_GLOBAL__N_125multi_tensor_apply_kernelINS1_18TensorListMetadataILi2EEENS1_19FusedSgdMathFunctorIfLi2EEEJddPfddbbbS7_S7_EEEvT_T0_DpT1_.num_agpr, 0
	.set _ZN2at6native12_GLOBAL__N_125multi_tensor_apply_kernelINS1_18TensorListMetadataILi2EEENS1_19FusedSgdMathFunctorIfLi2EEEJddPfddbbbS7_S7_EEEvT_T0_DpT1_.numbered_sgpr, 37
	.set _ZN2at6native12_GLOBAL__N_125multi_tensor_apply_kernelINS1_18TensorListMetadataILi2EEENS1_19FusedSgdMathFunctorIfLi2EEEJddPfddbbbS7_S7_EEEvT_T0_DpT1_.num_named_barrier, 0
	.set _ZN2at6native12_GLOBAL__N_125multi_tensor_apply_kernelINS1_18TensorListMetadataILi2EEENS1_19FusedSgdMathFunctorIfLi2EEEJddPfddbbbS7_S7_EEEvT_T0_DpT1_.private_seg_size, 0
	.set _ZN2at6native12_GLOBAL__N_125multi_tensor_apply_kernelINS1_18TensorListMetadataILi2EEENS1_19FusedSgdMathFunctorIfLi2EEEJddPfddbbbS7_S7_EEEvT_T0_DpT1_.uses_vcc, 1
	.set _ZN2at6native12_GLOBAL__N_125multi_tensor_apply_kernelINS1_18TensorListMetadataILi2EEENS1_19FusedSgdMathFunctorIfLi2EEEJddPfddbbbS7_S7_EEEvT_T0_DpT1_.uses_flat_scratch, 0
	.set _ZN2at6native12_GLOBAL__N_125multi_tensor_apply_kernelINS1_18TensorListMetadataILi2EEENS1_19FusedSgdMathFunctorIfLi2EEEJddPfddbbbS7_S7_EEEvT_T0_DpT1_.has_dyn_sized_stack, 0
	.set _ZN2at6native12_GLOBAL__N_125multi_tensor_apply_kernelINS1_18TensorListMetadataILi2EEENS1_19FusedSgdMathFunctorIfLi2EEEJddPfddbbbS7_S7_EEEvT_T0_DpT1_.has_recursion, 0
	.set _ZN2at6native12_GLOBAL__N_125multi_tensor_apply_kernelINS1_18TensorListMetadataILi2EEENS1_19FusedSgdMathFunctorIfLi2EEEJddPfddbbbS7_S7_EEEvT_T0_DpT1_.has_indirect_call, 0
	.section	.AMDGPU.csdata,"",@progbits
; Kernel info:
; codeLenInByte = 2736
; TotalNumSgprs: 41
; NumVgprs: 40
; ScratchSize: 0
; MemoryBound: 0
; FloatMode: 240
; IeeeMode: 1
; LDSByteSize: 0 bytes/workgroup (compile time only)
; SGPRBlocks: 5
; VGPRBlocks: 9
; NumSGPRsForWavesPerEU: 41
; NumVGPRsForWavesPerEU: 40
; Occupancy: 6
; WaveLimiterHint : 0
; COMPUTE_PGM_RSRC2:SCRATCH_EN: 0
; COMPUTE_PGM_RSRC2:USER_SGPR: 6
; COMPUTE_PGM_RSRC2:TRAP_HANDLER: 0
; COMPUTE_PGM_RSRC2:TGID_X_EN: 1
; COMPUTE_PGM_RSRC2:TGID_Y_EN: 0
; COMPUTE_PGM_RSRC2:TGID_Z_EN: 0
; COMPUTE_PGM_RSRC2:TIDIG_COMP_CNT: 0
	.section	.text._ZN2at6native12_GLOBAL__N_125multi_tensor_apply_kernelINS1_18TensorListMetadataILi2EEENS1_19FusedSgdMathFunctorIN3c104HalfELi2EEEJddPfddbbbS9_S9_EEEvT_T0_DpT1_,"axG",@progbits,_ZN2at6native12_GLOBAL__N_125multi_tensor_apply_kernelINS1_18TensorListMetadataILi2EEENS1_19FusedSgdMathFunctorIN3c104HalfELi2EEEJddPfddbbbS9_S9_EEEvT_T0_DpT1_,comdat
	.globl	_ZN2at6native12_GLOBAL__N_125multi_tensor_apply_kernelINS1_18TensorListMetadataILi2EEENS1_19FusedSgdMathFunctorIN3c104HalfELi2EEEJddPfddbbbS9_S9_EEEvT_T0_DpT1_ ; -- Begin function _ZN2at6native12_GLOBAL__N_125multi_tensor_apply_kernelINS1_18TensorListMetadataILi2EEENS1_19FusedSgdMathFunctorIN3c104HalfELi2EEEJddPfddbbbS9_S9_EEEvT_T0_DpT1_
	.p2align	8
	.type	_ZN2at6native12_GLOBAL__N_125multi_tensor_apply_kernelINS1_18TensorListMetadataILi2EEENS1_19FusedSgdMathFunctorIN3c104HalfELi2EEEJddPfddbbbS9_S9_EEEvT_T0_DpT1_,@function
_ZN2at6native12_GLOBAL__N_125multi_tensor_apply_kernelINS1_18TensorListMetadataILi2EEENS1_19FusedSgdMathFunctorIN3c104HalfELi2EEEJddPfddbbbS9_S9_EEEvT_T0_DpT1_: ; @_ZN2at6native12_GLOBAL__N_125multi_tensor_apply_kernelINS1_18TensorListMetadataILi2EEENS1_19FusedSgdMathFunctorIN3c104HalfELi2EEEJddPfddbbbS9_S9_EEEvT_T0_DpT1_
; %bb.0:
	s_load_dwordx4 s[16:19], s[4:5], 0xc80
	s_waitcnt lgkmcnt(0)
	s_cmp_eq_u64 s[18:19], 0
	s_cselect_b64 s[0:1], -1, 0
	s_and_b64 vcc, exec, s[0:1]
	s_cbranch_vccnz .LBB6_2
; %bb.1:
	s_load_dword s0, s[18:19], 0x0
	s_waitcnt lgkmcnt(0)
	v_cmp_neq_f32_e64 s[0:1], s0, 1.0
.LBB6_2:
	s_andn2_b64 vcc, exec, s[0:1]
	s_cbranch_vccnz .LBB6_59
; %bb.3:
	v_mov_b32_e32 v1, s6
	global_load_ubyte v1, v1, s[4:5] offset:1536
	s_load_dwordx4 s[0:3], s[4:5], 0xc60
	s_add_u32 s7, s4, s6
	s_mul_hi_u32 s8, s6, 3
	s_mul_i32 s6, s6, 3
	s_addc_u32 s9, s5, 0
	s_add_u32 s6, s7, s6
	s_addc_u32 s7, s9, s8
	s_waitcnt lgkmcnt(0)
	s_cmp_eq_u64 s[0:1], 0
	s_mov_b64 s[8:9], 0
	s_waitcnt vmcnt(0)
	v_readfirstlane_b32 s10, v1
	s_cbranch_scc1 .LBB6_60
; %bb.4:
	s_load_dword s1, s[0:1], 0x0
	s_nop 0
	s_load_dword s0, s[6:7], 0x740
	s_andn2_b64 vcc, exec, s[8:9]
	s_waitcnt lgkmcnt(0)
	v_mov_b32_e32 v12, s1
	s_cbranch_vccnz .LBB6_6
.LBB6_5:
	v_cvt_f32_f64_e32 v12, s[2:3]
.LBB6_6:
	s_load_dword s1, s[4:5], 0xc78
	s_load_dwordx2 s[2:3], s[4:5], 0xc50
	s_waitcnt lgkmcnt(0)
	s_bitcmp1_b32 s1, 8
	s_cselect_b64 s[14:15], -1, 0
	s_and_b32 s6, s10, 0xff
	s_lshl_b32 s12, s6, 3
	s_load_dwordx2 s[8:9], s[4:5], s12 offset:0x400
	s_ashr_i32 s1, s0, 31
	v_cvt_f32_f64_e32 v13, s[2:3]
	s_load_dwordx2 s[2:3], s[4:5], s12 offset:0x0
	s_load_dwordx2 s[6:7], s[4:5], s12 offset:0x200
	s_lshl_b64 s[10:11], s[0:1], 16
	s_waitcnt lgkmcnt(0)
	s_sub_u32 s18, s8, s10
	s_subb_u32 s19, s9, s11
	s_lshl_b64 s[20:21], s[0:1], 17
	s_add_u32 s30, s2, s20
	s_addc_u32 s33, s3, s21
	s_and_b32 s0, s30, 7
	s_mov_b32 s1, 0
	s_add_u32 s31, s6, s20
	s_addc_u32 s34, s7, s21
	s_and_b32 s10, s31, 7
	s_mov_b32 s11, s1
	s_and_b32 s8, s8, 3
	s_mov_b32 s9, s1
	s_or_b64 s[8:9], s[8:9], s[10:11]
	s_or_b64 s[0:1], s[8:9], s[0:1]
	s_cmp_eq_u64 s[0:1], 0
	s_mov_b64 s[0:1], -1
	s_cbranch_scc1 .LBB6_45
; %bb.7:
	v_cmp_lt_i64_e64 s[0:1], s[18:19], 1
	s_and_b64 vcc, exec, s[0:1]
	s_cbranch_vccnz .LBB6_44
; %bb.8:
	v_mov_b32_e32 v1, 0x10000
	s_load_dword s8, s[4:5], 0xc9c
	v_mov_b32_e32 v2, 0
	v_cmp_lt_i64_e32 vcc, s[18:19], v[1:2]
	v_mov_b32_e32 v10, 0
	s_and_b64 s[0:1], vcc, exec
	s_cselect_b32 s23, s19, 0
	s_cselect_b32 s22, s18, 0x10000
	s_waitcnt lgkmcnt(0)
	s_and_b32 s10, s8, 0xffff
	v_lshlrev_b32_e32 v9, 1, v0
	v_mov_b32_e32 v2, s3
	v_add_co_u32_e32 v1, vcc, s2, v9
	v_mad_u64_u32 v[7:8], s[8:9], s10, 6, v[9:10]
	v_addc_co_u32_e32 v2, vcc, 0, v2, vcc
	v_mov_b32_e32 v4, s7
	v_add_co_u32_e32 v3, vcc, s6, v9
	v_addc_co_u32_e32 v4, vcc, 0, v4, vcc
	v_mov_b32_e32 v6, s3
	v_add_co_u32_e32 v5, vcc, s2, v7
	s_lshl_b32 s11, s10, 1
	v_addc_co_u32_e32 v6, vcc, v6, v8, vcc
	s_cmp_lg_u64 s[16:17], 0
	v_mov_b32_e32 v10, s7
	v_add_co_u32_e32 v7, vcc, s6, v7
	s_cselect_b64 s[26:27], -1, 0
	s_lshl_b32 s35, s10, 2
	v_addc_co_u32_e32 v8, vcc, v10, v8, vcc
	v_add_co_u32_e32 v11, vcc, s35, v9
	v_addc_co_u32_e64 v14, s[8:9], 0, 0, vcc
	v_mov_b32_e32 v10, s3
	v_add_co_u32_e32 v9, vcc, s2, v11
	v_addc_co_u32_e32 v10, vcc, v10, v14, vcc
	v_mov_b32_e32 v15, s7
	v_add_co_u32_e32 v11, vcc, s6, v11
	v_addc_co_u32_e32 v14, vcc, v15, v14, vcc
	v_add_co_u32_e32 v15, vcc, s10, v0
	v_lshlrev_b32_e32 v19, 1, v15
	v_addc_co_u32_e64 v16, s[8:9], 0, 0, vcc
	v_mov_b32_e32 v18, s3
	v_add_co_u32_e32 v17, vcc, s2, v19
	v_addc_co_u32_e32 v18, vcc, 0, v18, vcc
	v_mov_b32_e32 v20, s7
	v_add_co_u32_e32 v19, vcc, s6, v19
	s_mul_i32 s12, s10, 3
	v_addc_co_u32_e32 v20, vcc, 0, v20, vcc
	v_add_co_u32_e32 v21, vcc, s12, v0
	v_addc_co_u32_e64 v22, s[2:3], 0, 0, vcc
	v_add_co_u32_e32 v23, vcc, s11, v0
	s_mov_b64 s[24:25], 0
	v_cmp_neq_f32_e64 s[0:1], 0, v13
	s_lshl_b32 s36, s10, 3
	v_addc_co_u32_e64 v24, s[2:3], 0, 0, vcc
	s_branch .LBB6_11
.LBB6_9:                                ;   in Loop: Header=BB6_11 Depth=1
	s_or_b64 exec, exec, s[2:3]
.LBB6_10:                               ;   in Loop: Header=BB6_11 Depth=1
	v_add_co_u32_e32 v1, vcc, s36, v1
	v_addc_co_u32_e32 v2, vcc, 0, v2, vcc
	v_add_co_u32_e32 v3, vcc, s36, v3
	v_addc_co_u32_e32 v4, vcc, 0, v4, vcc
	;; [unrolled: 2-line block ×6, first 2 shown]
	s_add_u32 s24, s24, s35
	v_add_co_u32_e32 v17, vcc, s36, v17
	v_mov_b32_e32 v26, s23
	s_addc_u32 s25, s25, 0
	v_addc_co_u32_e32 v18, vcc, 0, v18, vcc
	v_mov_b32_e32 v25, s22
	v_cmp_lt_i64_e32 vcc, s[24:25], v[25:26]
	v_add_co_u32_e64 v19, s[2:3], s36, v19
	v_addc_co_u32_e64 v20, s[2:3], 0, v20, s[2:3]
	s_cbranch_vccz .LBB6_44
.LBB6_11:                               ; =>This Inner Loop Header: Depth=1
	v_mov_b32_e32 v26, s25
	v_add_co_u32_e32 v25, vcc, s24, v0
	v_addc_co_u32_e32 v26, vcc, 0, v26, vcc
	v_cmp_gt_i64_e64 s[2:3], s[22:23], v[25:26]
	v_mov_b32_e32 v25, 0
	v_mov_b32_e32 v26, 0
	;; [unrolled: 1-line block ×3, first 2 shown]
	s_and_saveexec_b64 s[6:7], s[2:3]
	s_cbranch_execz .LBB6_13
; %bb.12:                               ;   in Loop: Header=BB6_11 Depth=1
	v_mov_b32_e32 v28, s21
	v_add_co_u32_e32 v26, vcc, s20, v1
	v_addc_co_u32_e32 v27, vcc, v2, v28, vcc
	global_load_ushort v29, v[26:27], off
	v_add_co_u32_e32 v26, vcc, s20, v3
	v_addc_co_u32_e32 v27, vcc, v4, v28, vcc
	global_load_ushort v26, v[26:27], off
	s_waitcnt vmcnt(1)
	v_cvt_f32_f16_e32 v29, v29
.LBB6_13:                               ;   in Loop: Header=BB6_11 Depth=1
	s_or_b64 exec, exec, s[6:7]
	v_mov_b32_e32 v28, s25
	v_add_co_u32_e32 v27, vcc, s24, v15
	v_addc_co_u32_e32 v28, vcc, v16, v28, vcc
	v_cmp_gt_i64_e64 s[6:7], s[22:23], v[27:28]
	v_mov_b32_e32 v30, 0
	s_and_saveexec_b64 s[8:9], s[6:7]
	s_cbranch_execz .LBB6_15
; %bb.14:                               ;   in Loop: Header=BB6_11 Depth=1
	v_mov_b32_e32 v25, s21
	v_add_co_u32_e32 v27, vcc, s20, v17
	v_addc_co_u32_e32 v28, vcc, v18, v25, vcc
	global_load_ushort v30, v[27:28], off
	v_add_co_u32_e32 v27, vcc, s20, v19
	v_addc_co_u32_e32 v28, vcc, v20, v25, vcc
	global_load_ushort v25, v[27:28], off
	s_waitcnt vmcnt(1)
	v_cvt_f32_f16_e32 v30, v30
.LBB6_15:                               ;   in Loop: Header=BB6_11 Depth=1
	s_or_b64 exec, exec, s[8:9]
	v_mov_b32_e32 v28, s25
	v_add_co_u32_e32 v27, vcc, s24, v23
	v_addc_co_u32_e32 v28, vcc, v24, v28, vcc
	v_cmp_gt_i64_e64 s[8:9], s[22:23], v[27:28]
	v_mov_b32_e32 v31, 0
	v_mov_b32_e32 v27, 0
	;; [unrolled: 1-line block ×3, first 2 shown]
	s_and_saveexec_b64 s[10:11], s[8:9]
	s_cbranch_execz .LBB6_17
; %bb.16:                               ;   in Loop: Header=BB6_11 Depth=1
	v_mov_b32_e32 v28, s21
	v_add_co_u32_e32 v31, vcc, s20, v9
	v_addc_co_u32_e32 v32, vcc, v10, v28, vcc
	global_load_ushort v33, v[31:32], off
	v_add_co_u32_e32 v31, vcc, s20, v11
	v_addc_co_u32_e32 v32, vcc, v14, v28, vcc
	global_load_ushort v28, v[31:32], off
	s_waitcnt vmcnt(1)
	v_cvt_f32_f16_e32 v31, v33
.LBB6_17:                               ;   in Loop: Header=BB6_11 Depth=1
	s_or_b64 exec, exec, s[10:11]
	v_mov_b32_e32 v33, s25
	v_add_co_u32_e32 v32, vcc, s24, v21
	v_addc_co_u32_e32 v33, vcc, v22, v33, vcc
	v_cmp_gt_i64_e64 s[10:11], s[22:23], v[32:33]
	v_mov_b32_e32 v32, 0
	s_and_saveexec_b64 s[12:13], s[10:11]
	s_cbranch_execz .LBB6_19
; %bb.18:                               ;   in Loop: Header=BB6_11 Depth=1
	v_mov_b32_e32 v27, s21
	v_add_co_u32_e32 v32, vcc, s20, v5
	v_addc_co_u32_e32 v33, vcc, v6, v27, vcc
	global_load_ushort v34, v[32:33], off
	v_add_co_u32_e32 v32, vcc, s20, v7
	v_addc_co_u32_e32 v33, vcc, v8, v27, vcc
	global_load_ushort v27, v[32:33], off
	s_waitcnt vmcnt(1)
	v_cvt_f32_f16_e32 v32, v34
.LBB6_19:                               ;   in Loop: Header=BB6_11 Depth=1
	s_or_b64 exec, exec, s[12:13]
	s_waitcnt vmcnt(0)
	v_cvt_f32_f16_e32 v33, v26
	v_cndmask_b32_e64 v34, 0, 1, s[26:27]
	v_cmp_ne_u32_e64 s[12:13], 1, v34
	s_andn2_b64 vcc, exec, s[26:27]
	s_cbranch_vccnz .LBB6_21
; %bb.20:                               ;   in Loop: Header=BB6_11 Depth=1
	s_load_dword s37, s[16:17], 0x0
	s_waitcnt lgkmcnt(0)
	v_div_scale_f32 v26, s[28:29], s37, s37, v33
	v_div_scale_f32 v34, vcc, v33, s37, v33
	v_rcp_f32_e32 v35, v26
	v_fma_f32 v36, -v26, v35, 1.0
	v_fmac_f32_e32 v35, v36, v35
	v_mul_f32_e32 v36, v34, v35
	v_fma_f32 v37, -v26, v36, v34
	v_fmac_f32_e32 v36, v37, v35
	v_fma_f32 v26, -v26, v36, v34
	v_div_fmas_f32 v26, v26, v35, v36
	v_div_fixup_f32 v33, v26, s37, v33
	v_cvt_f16_f32_e32 v26, v33
.LBB6_21:                               ;   in Loop: Header=BB6_11 Depth=1
	v_cvt_f32_f16_e32 v34, v25
	s_and_b64 vcc, exec, s[12:13]
	s_cbranch_vccnz .LBB6_23
; %bb.22:                               ;   in Loop: Header=BB6_11 Depth=1
	s_load_dword s37, s[16:17], 0x0
	s_waitcnt lgkmcnt(0)
	v_div_scale_f32 v25, s[28:29], s37, s37, v34
	v_div_scale_f32 v35, vcc, v34, s37, v34
	v_rcp_f32_e32 v36, v25
	v_fma_f32 v37, -v25, v36, 1.0
	v_fmac_f32_e32 v36, v37, v36
	v_mul_f32_e32 v37, v35, v36
	v_fma_f32 v38, -v25, v37, v35
	v_fmac_f32_e32 v37, v38, v36
	v_fma_f32 v25, -v25, v37, v35
	v_div_fmas_f32 v25, v25, v36, v37
	v_div_fixup_f32 v34, v25, s37, v34
	v_cvt_f16_f32_e32 v25, v34
.LBB6_23:                               ;   in Loop: Header=BB6_11 Depth=1
	v_cvt_f32_f16_e32 v35, v28
	s_and_b64 vcc, exec, s[12:13]
	;; [unrolled: 19-line block ×3, first 2 shown]
	s_cbranch_vccnz .LBB6_27
; %bb.26:                               ;   in Loop: Header=BB6_11 Depth=1
	s_load_dword s37, s[16:17], 0x0
	s_waitcnt lgkmcnt(0)
	v_div_scale_f32 v27, s[28:29], s37, s37, v36
	v_div_scale_f32 v37, vcc, v36, s37, v36
	v_rcp_f32_e32 v38, v27
	v_fma_f32 v39, -v27, v38, 1.0
	v_fmac_f32_e32 v38, v39, v38
	v_mul_f32_e32 v39, v37, v38
	v_fma_f32 v40, -v27, v39, v37
	v_fmac_f32_e32 v39, v40, v38
	v_fma_f32 v27, -v27, v39, v37
	v_div_fmas_f32 v27, v27, v38, v39
	v_div_fixup_f32 v36, v27, s37, v36
	v_cvt_f16_f32_e32 v27, v36
.LBB6_27:                               ;   in Loop: Header=BB6_11 Depth=1
	s_and_saveexec_b64 s[28:29], s[2:3]
	s_cbranch_execnz .LBB6_32
; %bb.28:                               ;   in Loop: Header=BB6_11 Depth=1
	s_or_b64 exec, exec, s[28:29]
	s_and_saveexec_b64 s[28:29], s[6:7]
	s_cbranch_execnz .LBB6_33
.LBB6_29:                               ;   in Loop: Header=BB6_11 Depth=1
	s_or_b64 exec, exec, s[28:29]
	s_and_saveexec_b64 s[28:29], s[8:9]
	s_cbranch_execnz .LBB6_34
.LBB6_30:                               ;   in Loop: Header=BB6_11 Depth=1
	s_or_b64 exec, exec, s[28:29]
	s_and_saveexec_b64 s[28:29], s[10:11]
	s_cbranch_execnz .LBB6_35
.LBB6_31:                               ;   in Loop: Header=BB6_11 Depth=1
	s_or_b64 exec, exec, s[28:29]
	s_and_b64 vcc, exec, s[12:13]
	s_cbranch_vccz .LBB6_36
	s_branch .LBB6_10
.LBB6_32:                               ;   in Loop: Header=BB6_11 Depth=1
	v_cndmask_b32_e64 v33, v33, -v33, s[14:15]
	v_fma_f32 v37, v29, v13, v33
	v_cndmask_b32_e64 v33, v33, v37, s[0:1]
	v_fma_mixlo_f16 v29, -v12, v33, v29
	v_mov_b32_e32 v33, s21
	v_add_co_u32_e32 v37, vcc, s20, v1
	v_addc_co_u32_e32 v38, vcc, v2, v33, vcc
	global_store_short v[37:38], v29, off
	s_or_b64 exec, exec, s[28:29]
	s_and_saveexec_b64 s[28:29], s[6:7]
	s_cbranch_execz .LBB6_29
.LBB6_33:                               ;   in Loop: Header=BB6_11 Depth=1
	v_cndmask_b32_e64 v29, v34, -v34, s[14:15]
	v_fma_f32 v33, v30, v13, v29
	v_cndmask_b32_e64 v29, v29, v33, s[0:1]
	v_fma_mixlo_f16 v33, -v12, v29, v30
	v_mov_b32_e32 v30, s21
	v_add_co_u32_e32 v29, vcc, s20, v17
	v_addc_co_u32_e32 v30, vcc, v18, v30, vcc
	global_store_short v[29:30], v33, off
	s_or_b64 exec, exec, s[28:29]
	s_and_saveexec_b64 s[28:29], s[8:9]
	s_cbranch_execz .LBB6_30
.LBB6_34:                               ;   in Loop: Header=BB6_11 Depth=1
	v_cndmask_b32_e64 v29, v35, -v35, s[14:15]
	v_fma_f32 v30, v31, v13, v29
	v_cndmask_b32_e64 v29, v29, v30, s[0:1]
	v_fma_mixlo_f16 v31, -v12, v29, v31
	v_mov_b32_e32 v30, s21
	v_add_co_u32_e32 v29, vcc, s20, v9
	v_addc_co_u32_e32 v30, vcc, v10, v30, vcc
	global_store_short v[29:30], v31, off
	s_or_b64 exec, exec, s[28:29]
	s_and_saveexec_b64 s[28:29], s[10:11]
	s_cbranch_execz .LBB6_31
.LBB6_35:                               ;   in Loop: Header=BB6_11 Depth=1
	v_cndmask_b32_e64 v29, v36, -v36, s[14:15]
	v_fma_f32 v30, v32, v13, v29
	v_cndmask_b32_e64 v29, v29, v30, s[0:1]
	v_fma_mixlo_f16 v31, -v12, v29, v32
	v_mov_b32_e32 v30, s21
	v_add_co_u32_e32 v29, vcc, s20, v5
	v_addc_co_u32_e32 v30, vcc, v6, v30, vcc
	global_store_short v[29:30], v31, off
	s_or_b64 exec, exec, s[28:29]
	s_and_b64 vcc, exec, s[12:13]
	s_cbranch_vccnz .LBB6_10
.LBB6_36:                               ;   in Loop: Header=BB6_11 Depth=1
	s_and_saveexec_b64 s[12:13], s[2:3]
	s_cbranch_execnz .LBB6_40
; %bb.37:                               ;   in Loop: Header=BB6_11 Depth=1
	s_or_b64 exec, exec, s[12:13]
	s_and_saveexec_b64 s[2:3], s[6:7]
	s_cbranch_execnz .LBB6_41
.LBB6_38:                               ;   in Loop: Header=BB6_11 Depth=1
	s_or_b64 exec, exec, s[2:3]
	s_and_saveexec_b64 s[2:3], s[8:9]
	s_cbranch_execnz .LBB6_42
.LBB6_39:                               ;   in Loop: Header=BB6_11 Depth=1
	s_or_b64 exec, exec, s[2:3]
	s_and_saveexec_b64 s[2:3], s[10:11]
	s_cbranch_execz .LBB6_9
	s_branch .LBB6_43
.LBB6_40:                               ;   in Loop: Header=BB6_11 Depth=1
	v_mov_b32_e32 v30, s21
	v_add_co_u32_e32 v29, vcc, s20, v3
	v_addc_co_u32_e32 v30, vcc, v4, v30, vcc
	global_store_short v[29:30], v26, off
	s_or_b64 exec, exec, s[12:13]
	s_and_saveexec_b64 s[2:3], s[6:7]
	s_cbranch_execz .LBB6_38
.LBB6_41:                               ;   in Loop: Header=BB6_11 Depth=1
	v_mov_b32_e32 v26, s21
	v_add_co_u32_e32 v29, vcc, s20, v19
	v_addc_co_u32_e32 v30, vcc, v20, v26, vcc
	global_store_short v[29:30], v25, off
	s_or_b64 exec, exec, s[2:3]
	s_and_saveexec_b64 s[2:3], s[8:9]
	s_cbranch_execz .LBB6_39
.LBB6_42:                               ;   in Loop: Header=BB6_11 Depth=1
	v_mov_b32_e32 v26, s21
	v_add_co_u32_e32 v25, vcc, s20, v11
	v_addc_co_u32_e32 v26, vcc, v14, v26, vcc
	global_store_short v[25:26], v28, off
	s_or_b64 exec, exec, s[2:3]
	s_and_saveexec_b64 s[2:3], s[10:11]
	s_cbranch_execz .LBB6_9
.LBB6_43:                               ;   in Loop: Header=BB6_11 Depth=1
	v_mov_b32_e32 v26, s21
	v_add_co_u32_e32 v25, vcc, s20, v7
	v_addc_co_u32_e32 v26, vcc, v8, v26, vcc
	global_store_short v[25:26], v27, off
	s_branch .LBB6_9
.LBB6_44:
	s_mov_b64 s[0:1], 0
.LBB6_45:
	s_andn2_b64 vcc, exec, s[0:1]
	s_cbranch_vccnz .LBB6_59
; %bb.46:
	v_mov_b32_e32 v3, 0
	v_lshlrev_b32_e32 v2, 2, v0
	v_cmp_gt_i64_e32 vcc, s[18:19], v[2:3]
	s_and_saveexec_b64 s[0:1], vcc
	s_cbranch_execz .LBB6_59
; %bb.47:
	s_load_dword s4, s[4:5], 0xc9c
	s_cmp_lg_u64 s[16:17], 0
	s_cselect_b64 s[2:3], -1, 0
	v_cndmask_b32_e64 v4, 0, 1, s[2:3]
	v_cmp_ne_u32_e64 s[2:3], 1, v4
	s_waitcnt lgkmcnt(0)
	s_and_b32 s8, s4, 0xffff
	v_add_lshl_u32 v2, v0, s8, 2
	v_mov_b32_e32 v5, v3
	v_mov_b32_e32 v1, v3
	s_mov_b64 s[6:7], 0
	v_cmp_neq_f32_e64 s[0:1], 0, v13
	v_add_u32_e32 v14, s8, v0
	s_lshl_b32 s9, s8, 2
	v_mov_b32_e32 v15, s33
	v_mov_b32_e32 v16, s34
	s_mov_b32 s10, 0x5040100
	s_movk_i32 s11, 0x3fff
	v_mov_b32_e32 v4, v2
	v_mov_b32_e32 v2, v0
	s_branch .LBB6_49
.LBB6_48:                               ;   in Loop: Header=BB6_49 Depth=1
	v_cmp_le_u64_e32 vcc, s[18:19], v[4:5]
	v_cmp_lt_u32_e64 s[4:5], s11, v14
	v_add_u32_e32 v2, s8, v2
	s_or_b64 s[4:5], vcc, s[4:5]
	v_add_co_u32_e32 v4, vcc, s9, v4
	s_and_b64 s[4:5], exec, s[4:5]
	v_mov_b32_e32 v0, v2
	v_add_u32_e32 v14, s8, v14
	v_addc_co_u32_e32 v5, vcc, 0, v5, vcc
	s_or_b64 s[6:7], s[4:5], s[6:7]
	v_mov_b32_e32 v1, v3
	s_andn2_b64 exec, exec, s[6:7]
	s_cbranch_execz .LBB6_59
.LBB6_49:                               ; =>This Inner Loop Header: Depth=1
	v_lshlrev_b64 v[6:7], 3, v[0:1]
	v_add_co_u32_e32 v0, vcc, s31, v6
	v_addc_co_u32_e32 v1, vcc, v16, v7, vcc
	global_load_dwordx2 v[10:11], v[0:1], off
	v_add_co_u32_e32 v6, vcc, s30, v6
	v_addc_co_u32_e32 v7, vcc, v15, v7, vcc
	global_load_dwordx2 v[8:9], v[6:7], off
	s_and_b64 vcc, exec, s[2:3]
	s_waitcnt vmcnt(1)
	v_cvt_f32_f16_e32 v17, v10
	s_cbranch_vccnz .LBB6_57
; %bb.50:                               ;   in Loop: Header=BB6_49 Depth=1
	global_load_dword v18, v3, s[16:17]
	s_waitcnt vmcnt(0)
	v_div_scale_f32 v19, s[4:5], v18, v18, v17
	v_div_scale_f32 v20, vcc, v17, v18, v17
	v_rcp_f32_e32 v21, v19
	v_fma_f32 v22, -v19, v21, 1.0
	v_fmac_f32_e32 v21, v22, v21
	v_mul_f32_e32 v22, v20, v21
	v_fma_f32 v23, -v19, v22, v20
	v_fmac_f32_e32 v22, v23, v21
	v_fma_f32 v19, -v19, v22, v20
	v_div_fmas_f32 v19, v19, v21, v22
	v_div_fixup_f32 v17, v19, v18, v17
	v_cvt_f16_f32_e32 v18, v17
	v_lshrrev_b32_e32 v10, 16, v10
	v_cvt_f32_f16_e32 v19, v10
	s_and_b64 vcc, exec, s[2:3]
	s_cbranch_vccnz .LBB6_52
.LBB6_51:                               ;   in Loop: Header=BB6_49 Depth=1
	global_load_dword v10, v3, s[16:17]
	s_waitcnt vmcnt(0)
	v_div_scale_f32 v20, s[4:5], v10, v10, v19
	v_div_scale_f32 v21, vcc, v19, v10, v19
	v_rcp_f32_e32 v22, v20
	v_fma_f32 v23, -v20, v22, 1.0
	v_fmac_f32_e32 v22, v23, v22
	v_mul_f32_e32 v23, v21, v22
	v_fma_f32 v24, -v20, v23, v21
	v_fmac_f32_e32 v23, v24, v22
	v_fma_f32 v20, -v20, v23, v21
	v_div_fmas_f32 v20, v20, v22, v23
	v_div_fixup_f32 v19, v20, v10, v19
	v_cvt_f16_f32_e32 v10, v19
.LBB6_52:                               ;   in Loop: Header=BB6_49 Depth=1
	v_cvt_f32_f16_e32 v21, v11
	s_and_b64 vcc, exec, s[2:3]
	s_cbranch_vccnz .LBB6_58
; %bb.53:                               ;   in Loop: Header=BB6_49 Depth=1
	global_load_dword v20, v3, s[16:17]
	s_waitcnt vmcnt(0)
	v_div_scale_f32 v22, s[4:5], v20, v20, v21
	v_div_scale_f32 v23, vcc, v21, v20, v21
	v_rcp_f32_e32 v24, v22
	v_fma_f32 v25, -v22, v24, 1.0
	v_fmac_f32_e32 v24, v25, v24
	v_mul_f32_e32 v25, v23, v24
	v_fma_f32 v26, -v22, v25, v23
	v_fmac_f32_e32 v25, v26, v24
	v_fma_f32 v22, -v22, v25, v23
	v_div_fmas_f32 v22, v22, v24, v25
	v_div_fixup_f32 v21, v22, v20, v21
	v_cvt_f16_f32_e32 v20, v21
	v_lshrrev_b32_e32 v22, 16, v11
	v_cvt_f32_f16_e32 v11, v22
	s_and_b64 vcc, exec, s[2:3]
	s_cbranch_vccnz .LBB6_55
.LBB6_54:                               ;   in Loop: Header=BB6_49 Depth=1
	global_load_dword v22, v3, s[16:17]
	s_waitcnt vmcnt(0)
	v_div_scale_f32 v23, s[4:5], v22, v22, v11
	v_div_scale_f32 v24, vcc, v11, v22, v11
	v_rcp_f32_e32 v25, v23
	v_fma_f32 v26, -v23, v25, 1.0
	v_fmac_f32_e32 v25, v26, v25
	v_mul_f32_e32 v26, v24, v25
	v_fma_f32 v27, -v23, v26, v24
	v_fmac_f32_e32 v26, v27, v25
	v_fma_f32 v23, -v23, v26, v24
	v_div_fmas_f32 v23, v23, v25, v26
	v_div_fixup_f32 v11, v23, v22, v11
	v_cvt_f16_f32_e32 v22, v11
.LBB6_55:                               ;   in Loop: Header=BB6_49 Depth=1
	v_cndmask_b32_e64 v21, v21, -v21, s[14:15]
	s_waitcnt vmcnt(0)
	v_fma_mix_f32 v23, v13, v9, v21 op_sel_hi:[0,1,0]
	v_cndmask_b32_e64 v21, v21, v23, s[0:1]
	v_cndmask_b32_e64 v19, v19, -v19, s[14:15]
	v_fma_mixlo_f16 v24, -v12, v21, v9 op_sel_hi:[0,0,1]
	v_fma_mix_f32 v21, v13, v8, v19 op_sel:[0,1,0] op_sel_hi:[0,1,0]
	v_cndmask_b32_e64 v17, v17, -v17, s[14:15]
	v_cndmask_b32_e64 v19, v19, v21, s[0:1]
	v_fma_mix_f32 v21, v13, v8, v17 op_sel_hi:[0,1,0]
	v_cndmask_b32_e64 v17, v17, v21, s[0:1]
	v_cndmask_b32_e64 v11, v11, -v11, s[14:15]
	v_fma_mixlo_f16 v23, -v12, v17, v8 op_sel_hi:[0,0,1]
	v_fma_mix_f32 v17, v13, v9, v11 op_sel:[0,1,0] op_sel_hi:[0,1,0]
	v_cndmask_b32_e64 v11, v11, v17, s[0:1]
	v_fma_mixhi_f16 v24, -v12, v11, v9 op_sel:[0,0,1] op_sel_hi:[0,0,1]
	v_fma_mixhi_f16 v23, -v12, v19, v8 op_sel:[0,0,1] op_sel_hi:[0,0,1]
	s_and_b64 vcc, exec, s[2:3]
	global_store_dwordx2 v[6:7], v[23:24], off
	s_cbranch_vccnz .LBB6_48
; %bb.56:                               ;   in Loop: Header=BB6_49 Depth=1
	v_perm_b32 v7, v22, v20, s10
	v_perm_b32 v6, v10, v18, s10
	global_store_dwordx2 v[0:1], v[6:7], off
	s_branch .LBB6_48
.LBB6_57:                               ;   in Loop: Header=BB6_49 Depth=1
	v_mov_b32_e32 v18, v10
	v_lshrrev_b32_e32 v10, 16, v10
	v_cvt_f32_f16_e32 v19, v10
	s_and_b64 vcc, exec, s[2:3]
	s_cbranch_vccz .LBB6_51
	s_branch .LBB6_52
.LBB6_58:                               ;   in Loop: Header=BB6_49 Depth=1
	v_mov_b32_e32 v20, v11
	v_lshrrev_b32_e32 v22, 16, v11
	v_cvt_f32_f16_e32 v11, v22
	s_and_b64 vcc, exec, s[2:3]
	s_cbranch_vccz .LBB6_54
	s_branch .LBB6_55
.LBB6_59:
	s_endpgm
.LBB6_60:
                                        ; implicit-def: $sgpr1
	s_load_dword s0, s[6:7], 0x740
	v_mov_b32_e32 v12, s1
	s_branch .LBB6_5
	.section	.rodata,"a",@progbits
	.p2align	6, 0x0
	.amdhsa_kernel _ZN2at6native12_GLOBAL__N_125multi_tensor_apply_kernelINS1_18TensorListMetadataILi2EEENS1_19FusedSgdMathFunctorIN3c104HalfELi2EEEJddPfddbbbS9_S9_EEEvT_T0_DpT1_
		.amdhsa_group_segment_fixed_size 0
		.amdhsa_private_segment_fixed_size 0
		.amdhsa_kernarg_size 3472
		.amdhsa_user_sgpr_count 6
		.amdhsa_user_sgpr_private_segment_buffer 1
		.amdhsa_user_sgpr_dispatch_ptr 0
		.amdhsa_user_sgpr_queue_ptr 0
		.amdhsa_user_sgpr_kernarg_segment_ptr 1
		.amdhsa_user_sgpr_dispatch_id 0
		.amdhsa_user_sgpr_flat_scratch_init 0
		.amdhsa_user_sgpr_private_segment_size 0
		.amdhsa_uses_dynamic_stack 0
		.amdhsa_system_sgpr_private_segment_wavefront_offset 0
		.amdhsa_system_sgpr_workgroup_id_x 1
		.amdhsa_system_sgpr_workgroup_id_y 0
		.amdhsa_system_sgpr_workgroup_id_z 0
		.amdhsa_system_sgpr_workgroup_info 0
		.amdhsa_system_vgpr_workitem_id 0
		.amdhsa_next_free_vgpr 41
		.amdhsa_next_free_sgpr 38
		.amdhsa_reserve_vcc 1
		.amdhsa_reserve_flat_scratch 0
		.amdhsa_float_round_mode_32 0
		.amdhsa_float_round_mode_16_64 0
		.amdhsa_float_denorm_mode_32 3
		.amdhsa_float_denorm_mode_16_64 3
		.amdhsa_dx10_clamp 1
		.amdhsa_ieee_mode 1
		.amdhsa_fp16_overflow 0
		.amdhsa_exception_fp_ieee_invalid_op 0
		.amdhsa_exception_fp_denorm_src 0
		.amdhsa_exception_fp_ieee_div_zero 0
		.amdhsa_exception_fp_ieee_overflow 0
		.amdhsa_exception_fp_ieee_underflow 0
		.amdhsa_exception_fp_ieee_inexact 0
		.amdhsa_exception_int_div_zero 0
	.end_amdhsa_kernel
	.section	.text._ZN2at6native12_GLOBAL__N_125multi_tensor_apply_kernelINS1_18TensorListMetadataILi2EEENS1_19FusedSgdMathFunctorIN3c104HalfELi2EEEJddPfddbbbS9_S9_EEEvT_T0_DpT1_,"axG",@progbits,_ZN2at6native12_GLOBAL__N_125multi_tensor_apply_kernelINS1_18TensorListMetadataILi2EEENS1_19FusedSgdMathFunctorIN3c104HalfELi2EEEJddPfddbbbS9_S9_EEEvT_T0_DpT1_,comdat
.Lfunc_end6:
	.size	_ZN2at6native12_GLOBAL__N_125multi_tensor_apply_kernelINS1_18TensorListMetadataILi2EEENS1_19FusedSgdMathFunctorIN3c104HalfELi2EEEJddPfddbbbS9_S9_EEEvT_T0_DpT1_, .Lfunc_end6-_ZN2at6native12_GLOBAL__N_125multi_tensor_apply_kernelINS1_18TensorListMetadataILi2EEENS1_19FusedSgdMathFunctorIN3c104HalfELi2EEEJddPfddbbbS9_S9_EEEvT_T0_DpT1_
                                        ; -- End function
	.set _ZN2at6native12_GLOBAL__N_125multi_tensor_apply_kernelINS1_18TensorListMetadataILi2EEENS1_19FusedSgdMathFunctorIN3c104HalfELi2EEEJddPfddbbbS9_S9_EEEvT_T0_DpT1_.num_vgpr, 41
	.set _ZN2at6native12_GLOBAL__N_125multi_tensor_apply_kernelINS1_18TensorListMetadataILi2EEENS1_19FusedSgdMathFunctorIN3c104HalfELi2EEEJddPfddbbbS9_S9_EEEvT_T0_DpT1_.num_agpr, 0
	.set _ZN2at6native12_GLOBAL__N_125multi_tensor_apply_kernelINS1_18TensorListMetadataILi2EEENS1_19FusedSgdMathFunctorIN3c104HalfELi2EEEJddPfddbbbS9_S9_EEEvT_T0_DpT1_.numbered_sgpr, 38
	.set _ZN2at6native12_GLOBAL__N_125multi_tensor_apply_kernelINS1_18TensorListMetadataILi2EEENS1_19FusedSgdMathFunctorIN3c104HalfELi2EEEJddPfddbbbS9_S9_EEEvT_T0_DpT1_.num_named_barrier, 0
	.set _ZN2at6native12_GLOBAL__N_125multi_tensor_apply_kernelINS1_18TensorListMetadataILi2EEENS1_19FusedSgdMathFunctorIN3c104HalfELi2EEEJddPfddbbbS9_S9_EEEvT_T0_DpT1_.private_seg_size, 0
	.set _ZN2at6native12_GLOBAL__N_125multi_tensor_apply_kernelINS1_18TensorListMetadataILi2EEENS1_19FusedSgdMathFunctorIN3c104HalfELi2EEEJddPfddbbbS9_S9_EEEvT_T0_DpT1_.uses_vcc, 1
	.set _ZN2at6native12_GLOBAL__N_125multi_tensor_apply_kernelINS1_18TensorListMetadataILi2EEENS1_19FusedSgdMathFunctorIN3c104HalfELi2EEEJddPfddbbbS9_S9_EEEvT_T0_DpT1_.uses_flat_scratch, 0
	.set _ZN2at6native12_GLOBAL__N_125multi_tensor_apply_kernelINS1_18TensorListMetadataILi2EEENS1_19FusedSgdMathFunctorIN3c104HalfELi2EEEJddPfddbbbS9_S9_EEEvT_T0_DpT1_.has_dyn_sized_stack, 0
	.set _ZN2at6native12_GLOBAL__N_125multi_tensor_apply_kernelINS1_18TensorListMetadataILi2EEENS1_19FusedSgdMathFunctorIN3c104HalfELi2EEEJddPfddbbbS9_S9_EEEvT_T0_DpT1_.has_recursion, 0
	.set _ZN2at6native12_GLOBAL__N_125multi_tensor_apply_kernelINS1_18TensorListMetadataILi2EEENS1_19FusedSgdMathFunctorIN3c104HalfELi2EEEJddPfddbbbS9_S9_EEEvT_T0_DpT1_.has_indirect_call, 0
	.section	.AMDGPU.csdata,"",@progbits
; Kernel info:
; codeLenInByte = 2824
; TotalNumSgprs: 42
; NumVgprs: 41
; ScratchSize: 0
; MemoryBound: 0
; FloatMode: 240
; IeeeMode: 1
; LDSByteSize: 0 bytes/workgroup (compile time only)
; SGPRBlocks: 5
; VGPRBlocks: 10
; NumSGPRsForWavesPerEU: 42
; NumVGPRsForWavesPerEU: 41
; Occupancy: 5
; WaveLimiterHint : 0
; COMPUTE_PGM_RSRC2:SCRATCH_EN: 0
; COMPUTE_PGM_RSRC2:USER_SGPR: 6
; COMPUTE_PGM_RSRC2:TRAP_HANDLER: 0
; COMPUTE_PGM_RSRC2:TGID_X_EN: 1
; COMPUTE_PGM_RSRC2:TGID_Y_EN: 0
; COMPUTE_PGM_RSRC2:TGID_Z_EN: 0
; COMPUTE_PGM_RSRC2:TIDIG_COMP_CNT: 0
	.section	.text._ZN2at6native12_GLOBAL__N_125multi_tensor_apply_kernelINS1_18TensorListMetadataILi2EEENS1_19FusedSgdMathFunctorIN3c108BFloat16ELi2EEEJddPfddbbbS9_S9_EEEvT_T0_DpT1_,"axG",@progbits,_ZN2at6native12_GLOBAL__N_125multi_tensor_apply_kernelINS1_18TensorListMetadataILi2EEENS1_19FusedSgdMathFunctorIN3c108BFloat16ELi2EEEJddPfddbbbS9_S9_EEEvT_T0_DpT1_,comdat
	.globl	_ZN2at6native12_GLOBAL__N_125multi_tensor_apply_kernelINS1_18TensorListMetadataILi2EEENS1_19FusedSgdMathFunctorIN3c108BFloat16ELi2EEEJddPfddbbbS9_S9_EEEvT_T0_DpT1_ ; -- Begin function _ZN2at6native12_GLOBAL__N_125multi_tensor_apply_kernelINS1_18TensorListMetadataILi2EEENS1_19FusedSgdMathFunctorIN3c108BFloat16ELi2EEEJddPfddbbbS9_S9_EEEvT_T0_DpT1_
	.p2align	8
	.type	_ZN2at6native12_GLOBAL__N_125multi_tensor_apply_kernelINS1_18TensorListMetadataILi2EEENS1_19FusedSgdMathFunctorIN3c108BFloat16ELi2EEEJddPfddbbbS9_S9_EEEvT_T0_DpT1_,@function
_ZN2at6native12_GLOBAL__N_125multi_tensor_apply_kernelINS1_18TensorListMetadataILi2EEENS1_19FusedSgdMathFunctorIN3c108BFloat16ELi2EEEJddPfddbbbS9_S9_EEEvT_T0_DpT1_: ; @_ZN2at6native12_GLOBAL__N_125multi_tensor_apply_kernelINS1_18TensorListMetadataILi2EEENS1_19FusedSgdMathFunctorIN3c108BFloat16ELi2EEEJddPfddbbbS9_S9_EEEvT_T0_DpT1_
; %bb.0:
	s_load_dwordx4 s[16:19], s[4:5], 0xc80
	s_waitcnt lgkmcnt(0)
	s_cmp_eq_u64 s[18:19], 0
	s_cselect_b64 s[0:1], -1, 0
	s_and_b64 vcc, exec, s[0:1]
	s_cbranch_vccnz .LBB7_2
; %bb.1:
	s_load_dword s0, s[18:19], 0x0
	s_waitcnt lgkmcnt(0)
	v_cmp_neq_f32_e64 s[0:1], s0, 1.0
.LBB7_2:
	s_andn2_b64 vcc, exec, s[0:1]
	s_cbranch_vccnz .LBB7_59
; %bb.3:
	v_mov_b32_e32 v1, s6
	global_load_ubyte v1, v1, s[4:5] offset:1536
	s_load_dwordx4 s[0:3], s[4:5], 0xc60
	s_add_u32 s7, s4, s6
	s_mul_hi_u32 s8, s6, 3
	s_mul_i32 s6, s6, 3
	s_addc_u32 s9, s5, 0
	s_add_u32 s6, s7, s6
	s_addc_u32 s7, s9, s8
	s_waitcnt lgkmcnt(0)
	s_cmp_eq_u64 s[0:1], 0
	s_mov_b64 s[8:9], 0
	s_waitcnt vmcnt(0)
	v_readfirstlane_b32 s10, v1
	s_cbranch_scc1 .LBB7_60
; %bb.4:
	s_load_dword s1, s[0:1], 0x0
	s_nop 0
	s_load_dword s0, s[6:7], 0x740
	s_andn2_b64 vcc, exec, s[8:9]
	s_waitcnt lgkmcnt(0)
	v_mov_b32_e32 v12, s1
	s_cbranch_vccnz .LBB7_6
.LBB7_5:
	v_cvt_f32_f64_e32 v12, s[2:3]
.LBB7_6:
	s_load_dword s1, s[4:5], 0xc78
	s_load_dwordx2 s[2:3], s[4:5], 0xc50
	s_waitcnt lgkmcnt(0)
	s_bitcmp1_b32 s1, 8
	s_cselect_b64 s[14:15], -1, 0
	s_and_b32 s6, s10, 0xff
	s_lshl_b32 s12, s6, 3
	s_load_dwordx2 s[6:7], s[4:5], s12 offset:0x400
	s_ashr_i32 s1, s0, 31
	v_cvt_f32_f64_e32 v13, s[2:3]
	s_load_dwordx2 s[2:3], s[4:5], s12 offset:0x0
	s_load_dwordx2 s[10:11], s[4:5], s12 offset:0x200
	s_lshl_b64 s[8:9], s[0:1], 16
	s_waitcnt lgkmcnt(0)
	s_sub_u32 s18, s6, s8
	s_subb_u32 s19, s7, s9
	s_lshl_b64 s[0:1], s[0:1], 17
	s_add_u32 s33, s2, s0
	s_addc_u32 s35, s3, s1
	s_and_b32 s2, s33, 7
	s_mov_b32 s3, 0
	s_add_u32 s34, s10, s0
	s_addc_u32 s36, s11, s1
	s_and_b32 s0, s34, 7
	s_mov_b32 s1, s3
	s_and_b32 s6, s6, 3
	s_mov_b32 s7, s3
	s_or_b64 s[0:1], s[6:7], s[0:1]
	s_or_b64 s[0:1], s[0:1], s[2:3]
	s_cmp_eq_u64 s[0:1], 0
	s_mov_b64 s[0:1], -1
	s_cbranch_scc1 .LBB7_45
; %bb.7:
	v_cmp_lt_i64_e64 s[0:1], s[18:19], 1
	s_and_b64 vcc, exec, s[0:1]
	s_cbranch_vccnz .LBB7_44
; %bb.8:
	v_mov_b32_e32 v1, 0x10000
	s_load_dword s2, s[4:5], 0xc9c
	v_mov_b32_e32 v2, 0
	v_cmp_lt_i64_e32 vcc, s[18:19], v[1:2]
	s_mov_b32 s21, 0
	s_and_b64 s[0:1], vcc, exec
	v_cmp_lt_u64_e32 vcc, s[18:19], v[1:2]
	s_cselect_b32 s23, s19, 0
	s_cselect_b32 s22, s18, 0x10000
	s_waitcnt lgkmcnt(0)
	s_and_b32 s37, s2, 0xffff
	s_and_b64 s[0:1], vcc, exec
	s_cselect_b32 s25, s19, 0
	s_cselect_b32 s24, s18, 0x10000
	s_lshl_b32 s38, s37, 1
	s_cmp_lg_u64 s[16:17], 0
	s_mul_i32 s39, s37, 3
	s_mov_b64 s[28:29], 0
	s_cselect_b64 s[26:27], -1, 0
	v_cmp_neq_f32_e64 s[0:1], 0, v13
	s_lshl_b32 s40, s37, 2
	v_mov_b32_e32 v2, 0
	s_movk_i32 s41, 0x7fff
	v_mov_b32_e32 v9, 0x7fc0
	s_branch .LBB7_11
.LBB7_9:                                ;   in Loop: Header=BB7_11 Depth=1
	s_or_b64 exec, exec, s[2:3]
.LBB7_10:                               ;   in Loop: Header=BB7_11 Depth=1
	s_add_i32 s20, s40, s28
	v_mov_b32_e32 v3, s20
	v_mov_b32_e32 v4, s21
	v_cmp_gt_i64_e32 vcc, s[22:23], v[3:4]
	s_mov_b64 s[28:29], s[20:21]
	s_cbranch_vccz .LBB7_44
.LBB7_11:                               ; =>This Inner Loop Header: Depth=1
	v_add_u32_e32 v1, s28, v0
	v_cmp_gt_u64_e64 s[2:3], s[24:25], v[1:2]
	v_mov_b32_e32 v10, v2
	v_mov_b32_e32 v16, v2
	s_and_saveexec_b64 s[6:7], s[2:3]
	s_cbranch_execz .LBB7_13
; %bb.12:                               ;   in Loop: Header=BB7_11 Depth=1
	v_lshlrev_b64 v[3:4], 1, v[1:2]
	v_mov_b32_e32 v6, s35
	v_add_co_u32_e32 v5, vcc, s33, v3
	v_addc_co_u32_e32 v6, vcc, v6, v4, vcc
	v_mov_b32_e32 v7, s36
	v_add_co_u32_e32 v3, vcc, s34, v3
	v_addc_co_u32_e32 v4, vcc, v7, v4, vcc
	global_load_ushort v7, v[5:6], off
	global_load_ushort v10, v[3:4], off
	s_waitcnt vmcnt(1)
	v_lshlrev_b32_e32 v16, 16, v7
.LBB7_13:                               ;   in Loop: Header=BB7_11 Depth=1
	s_or_b64 exec, exec, s[6:7]
	v_add_co_u32_e32 v3, vcc, s37, v1
	v_addc_co_u32_e64 v4, s[6:7], 0, 0, vcc
	v_cmp_gt_u64_e64 s[6:7], s[24:25], v[3:4]
	v_mov_b32_e32 v17, 0
	v_mov_b32_e32 v11, 0
	;; [unrolled: 1-line block ×3, first 2 shown]
	s_and_saveexec_b64 s[8:9], s[6:7]
	s_cbranch_execz .LBB7_15
; %bb.14:                               ;   in Loop: Header=BB7_11 Depth=1
	v_lshlrev_b64 v[5:6], 1, v[3:4]
	v_mov_b32_e32 v8, s35
	v_add_co_u32_e32 v7, vcc, s33, v5
	v_addc_co_u32_e32 v8, vcc, v8, v6, vcc
	v_mov_b32_e32 v14, s36
	v_add_co_u32_e32 v5, vcc, s34, v5
	v_addc_co_u32_e32 v6, vcc, v14, v6, vcc
	global_load_ushort v15, v[7:8], off
	global_load_ushort v14, v[5:6], off
	s_waitcnt vmcnt(1)
	v_lshlrev_b32_e32 v17, 16, v15
.LBB7_15:                               ;   in Loop: Header=BB7_11 Depth=1
	s_or_b64 exec, exec, s[8:9]
	v_add_co_u32_e32 v5, vcc, s38, v1
	v_addc_co_u32_e64 v6, s[8:9], 0, 0, vcc
	v_cmp_gt_u64_e64 s[8:9], s[24:25], v[5:6]
	v_mov_b32_e32 v18, 0
	s_and_saveexec_b64 s[10:11], s[8:9]
	s_cbranch_execz .LBB7_17
; %bb.16:                               ;   in Loop: Header=BB7_11 Depth=1
	v_lshlrev_b64 v[7:8], 1, v[5:6]
	v_mov_b32_e32 v11, s35
	v_add_co_u32_e32 v18, vcc, s33, v7
	v_addc_co_u32_e32 v19, vcc, v11, v8, vcc
	v_mov_b32_e32 v11, s36
	v_add_co_u32_e32 v7, vcc, s34, v7
	v_addc_co_u32_e32 v8, vcc, v11, v8, vcc
	global_load_ushort v15, v[18:19], off
	global_load_ushort v11, v[7:8], off
	s_waitcnt vmcnt(1)
	v_lshlrev_b32_e32 v18, 16, v15
.LBB7_17:                               ;   in Loop: Header=BB7_11 Depth=1
	s_or_b64 exec, exec, s[10:11]
	v_add_co_u32_e32 v7, vcc, s39, v1
	v_addc_co_u32_e64 v8, s[10:11], 0, 0, vcc
	v_cmp_gt_u64_e64 s[10:11], s[24:25], v[7:8]
	v_mov_b32_e32 v19, 0
	v_mov_b32_e32 v15, 0
	s_and_saveexec_b64 s[12:13], s[10:11]
	s_cbranch_execz .LBB7_19
; %bb.18:                               ;   in Loop: Header=BB7_11 Depth=1
	v_lshlrev_b64 v[19:20], 1, v[7:8]
	v_mov_b32_e32 v15, s35
	v_add_co_u32_e32 v21, vcc, s33, v19
	v_addc_co_u32_e32 v22, vcc, v15, v20, vcc
	v_mov_b32_e32 v15, s36
	v_add_co_u32_e32 v19, vcc, s34, v19
	v_addc_co_u32_e32 v20, vcc, v15, v20, vcc
	global_load_ushort v23, v[21:22], off
	global_load_ushort v15, v[19:20], off
	s_waitcnt vmcnt(1)
	v_lshlrev_b32_e32 v19, 16, v23
.LBB7_19:                               ;   in Loop: Header=BB7_11 Depth=1
	s_or_b64 exec, exec, s[12:13]
	v_cndmask_b32_e64 v20, 0, 1, s[26:27]
	v_cmp_ne_u32_e64 s[12:13], 1, v20
	s_andn2_b64 vcc, exec, s[26:27]
	s_waitcnt vmcnt(0)
	v_lshlrev_b32_e32 v20, 16, v10
	s_cbranch_vccnz .LBB7_21
; %bb.20:                               ;   in Loop: Header=BB7_11 Depth=1
	s_load_dword s20, s[16:17], 0x0
	s_waitcnt lgkmcnt(0)
	v_div_scale_f32 v10, s[30:31], s20, s20, v20
	v_div_scale_f32 v21, vcc, v20, s20, v20
	v_rcp_f32_e32 v22, v10
	v_fma_f32 v23, -v10, v22, 1.0
	v_fmac_f32_e32 v22, v23, v22
	v_mul_f32_e32 v23, v21, v22
	v_fma_f32 v24, -v10, v23, v21
	v_fmac_f32_e32 v23, v24, v22
	v_fma_f32 v10, -v10, v23, v21
	v_div_fmas_f32 v10, v10, v22, v23
	v_div_fixup_f32 v20, v10, s20, v20
	v_bfe_u32 v10, v20, 16, 1
	v_cmp_o_f32_e32 vcc, v20, v20
	v_add3_u32 v10, v20, v10, s41
	v_cndmask_b32_sdwa v10, v9, v10, vcc dst_sel:DWORD dst_unused:UNUSED_PAD src0_sel:DWORD src1_sel:WORD_1
.LBB7_21:                               ;   in Loop: Header=BB7_11 Depth=1
	s_and_b64 vcc, exec, s[12:13]
	v_lshlrev_b32_e32 v21, 16, v14
	s_cbranch_vccnz .LBB7_23
; %bb.22:                               ;   in Loop: Header=BB7_11 Depth=1
	s_load_dword s20, s[16:17], 0x0
	s_waitcnt lgkmcnt(0)
	v_div_scale_f32 v14, s[30:31], s20, s20, v21
	v_div_scale_f32 v22, vcc, v21, s20, v21
	v_rcp_f32_e32 v23, v14
	v_fma_f32 v24, -v14, v23, 1.0
	v_fmac_f32_e32 v23, v24, v23
	v_mul_f32_e32 v24, v22, v23
	v_fma_f32 v25, -v14, v24, v22
	v_fmac_f32_e32 v24, v25, v23
	v_fma_f32 v14, -v14, v24, v22
	v_div_fmas_f32 v14, v14, v23, v24
	v_div_fixup_f32 v21, v14, s20, v21
	v_bfe_u32 v14, v21, 16, 1
	v_cmp_o_f32_e32 vcc, v21, v21
	v_add3_u32 v14, v21, v14, s41
	v_cndmask_b32_sdwa v14, v9, v14, vcc dst_sel:DWORD dst_unused:UNUSED_PAD src0_sel:DWORD src1_sel:WORD_1
.LBB7_23:                               ;   in Loop: Header=BB7_11 Depth=1
	s_and_b64 vcc, exec, s[12:13]
	v_lshlrev_b32_e32 v22, 16, v11
	s_cbranch_vccnz .LBB7_25
; %bb.24:                               ;   in Loop: Header=BB7_11 Depth=1
	s_load_dword s20, s[16:17], 0x0
	s_waitcnt lgkmcnt(0)
	v_div_scale_f32 v11, s[30:31], s20, s20, v22
	v_div_scale_f32 v23, vcc, v22, s20, v22
	v_rcp_f32_e32 v24, v11
	v_fma_f32 v25, -v11, v24, 1.0
	v_fmac_f32_e32 v24, v25, v24
	v_mul_f32_e32 v25, v23, v24
	v_fma_f32 v26, -v11, v25, v23
	v_fmac_f32_e32 v25, v26, v24
	v_fma_f32 v11, -v11, v25, v23
	v_div_fmas_f32 v11, v11, v24, v25
	v_div_fixup_f32 v22, v11, s20, v22
	v_bfe_u32 v11, v22, 16, 1
	v_cmp_o_f32_e32 vcc, v22, v22
	v_add3_u32 v11, v22, v11, s41
	v_cndmask_b32_sdwa v11, v9, v11, vcc dst_sel:DWORD dst_unused:UNUSED_PAD src0_sel:DWORD src1_sel:WORD_1
.LBB7_25:                               ;   in Loop: Header=BB7_11 Depth=1
	s_and_b64 vcc, exec, s[12:13]
	v_lshlrev_b32_e32 v23, 16, v15
	s_cbranch_vccnz .LBB7_27
; %bb.26:                               ;   in Loop: Header=BB7_11 Depth=1
	s_load_dword s20, s[16:17], 0x0
	s_waitcnt lgkmcnt(0)
	v_div_scale_f32 v15, s[30:31], s20, s20, v23
	v_div_scale_f32 v24, vcc, v23, s20, v23
	v_rcp_f32_e32 v25, v15
	v_fma_f32 v26, -v15, v25, 1.0
	v_fmac_f32_e32 v25, v26, v25
	v_mul_f32_e32 v26, v24, v25
	v_fma_f32 v27, -v15, v26, v24
	v_fmac_f32_e32 v26, v27, v25
	v_fma_f32 v15, -v15, v26, v24
	v_div_fmas_f32 v15, v15, v25, v26
	v_div_fixup_f32 v23, v15, s20, v23
	v_bfe_u32 v15, v23, 16, 1
	v_cmp_o_f32_e32 vcc, v23, v23
	v_add3_u32 v15, v23, v15, s41
	v_cndmask_b32_sdwa v15, v9, v15, vcc dst_sel:DWORD dst_unused:UNUSED_PAD src0_sel:DWORD src1_sel:WORD_1
.LBB7_27:                               ;   in Loop: Header=BB7_11 Depth=1
	s_and_saveexec_b64 s[30:31], s[2:3]
	s_cbranch_execnz .LBB7_32
; %bb.28:                               ;   in Loop: Header=BB7_11 Depth=1
	s_or_b64 exec, exec, s[30:31]
	s_and_saveexec_b64 s[30:31], s[6:7]
	s_cbranch_execnz .LBB7_33
.LBB7_29:                               ;   in Loop: Header=BB7_11 Depth=1
	s_or_b64 exec, exec, s[30:31]
	s_and_saveexec_b64 s[30:31], s[8:9]
	s_cbranch_execnz .LBB7_34
.LBB7_30:                               ;   in Loop: Header=BB7_11 Depth=1
	s_or_b64 exec, exec, s[30:31]
	s_and_saveexec_b64 s[30:31], s[10:11]
	s_cbranch_execnz .LBB7_35
.LBB7_31:                               ;   in Loop: Header=BB7_11 Depth=1
	s_or_b64 exec, exec, s[30:31]
	s_and_b64 vcc, exec, s[12:13]
	s_cbranch_vccz .LBB7_36
	s_branch .LBB7_10
.LBB7_32:                               ;   in Loop: Header=BB7_11 Depth=1
	v_cndmask_b32_e64 v20, v20, -v20, s[14:15]
	v_fma_f32 v24, v16, v13, v20
	v_cndmask_b32_e64 v20, v20, v24, s[0:1]
	v_fma_f32 v16, -v12, v20, v16
	v_bfe_u32 v20, v16, 16, 1
	v_lshlrev_b64 v[24:25], 1, v[1:2]
	v_add3_u32 v20, v16, v20, s41
	v_cmp_o_f32_e32 vcc, v16, v16
	v_cndmask_b32_sdwa v16, v9, v20, vcc dst_sel:DWORD dst_unused:UNUSED_PAD src0_sel:DWORD src1_sel:WORD_1
	v_mov_b32_e32 v20, s35
	v_add_co_u32_e32 v24, vcc, s33, v24
	v_addc_co_u32_e32 v25, vcc, v20, v25, vcc
	global_store_short v[24:25], v16, off
	s_or_b64 exec, exec, s[30:31]
	s_and_saveexec_b64 s[30:31], s[6:7]
	s_cbranch_execz .LBB7_29
.LBB7_33:                               ;   in Loop: Header=BB7_11 Depth=1
	v_cndmask_b32_e64 v16, v21, -v21, s[14:15]
	v_fma_f32 v20, v17, v13, v16
	v_cndmask_b32_e64 v16, v16, v20, s[0:1]
	v_fma_f32 v16, -v12, v16, v17
	v_bfe_u32 v17, v16, 16, 1
	v_add3_u32 v17, v16, v17, s41
	v_cmp_o_f32_e32 vcc, v16, v16
	v_cndmask_b32_sdwa v20, v9, v17, vcc dst_sel:DWORD dst_unused:UNUSED_PAD src0_sel:DWORD src1_sel:WORD_1
	v_lshlrev_b64 v[16:17], 1, v[3:4]
	v_mov_b32_e32 v21, s35
	v_add_co_u32_e32 v16, vcc, s33, v16
	v_addc_co_u32_e32 v17, vcc, v21, v17, vcc
	global_store_short v[16:17], v20, off
	s_or_b64 exec, exec, s[30:31]
	s_and_saveexec_b64 s[30:31], s[8:9]
	s_cbranch_execz .LBB7_30
.LBB7_34:                               ;   in Loop: Header=BB7_11 Depth=1
	v_cndmask_b32_e64 v16, v22, -v22, s[14:15]
	v_fma_f32 v17, v18, v13, v16
	v_cndmask_b32_e64 v16, v16, v17, s[0:1]
	v_fma_f32 v16, -v12, v16, v18
	v_bfe_u32 v17, v16, 16, 1
	v_add3_u32 v17, v16, v17, s41
	v_cmp_o_f32_e32 vcc, v16, v16
	v_cndmask_b32_sdwa v18, v9, v17, vcc dst_sel:DWORD dst_unused:UNUSED_PAD src0_sel:DWORD src1_sel:WORD_1
	v_lshlrev_b64 v[16:17], 1, v[5:6]
	v_mov_b32_e32 v20, s35
	v_add_co_u32_e32 v16, vcc, s33, v16
	v_addc_co_u32_e32 v17, vcc, v20, v17, vcc
	global_store_short v[16:17], v18, off
	s_or_b64 exec, exec, s[30:31]
	s_and_saveexec_b64 s[30:31], s[10:11]
	s_cbranch_execz .LBB7_31
.LBB7_35:                               ;   in Loop: Header=BB7_11 Depth=1
	v_cndmask_b32_e64 v16, v23, -v23, s[14:15]
	v_fma_f32 v17, v19, v13, v16
	v_cndmask_b32_e64 v16, v16, v17, s[0:1]
	v_fma_f32 v16, -v12, v16, v19
	v_bfe_u32 v17, v16, 16, 1
	v_add3_u32 v17, v16, v17, s41
	v_cmp_o_f32_e32 vcc, v16, v16
	v_cndmask_b32_sdwa v18, v9, v17, vcc dst_sel:DWORD dst_unused:UNUSED_PAD src0_sel:DWORD src1_sel:WORD_1
	v_lshlrev_b64 v[16:17], 1, v[7:8]
	v_mov_b32_e32 v19, s35
	v_add_co_u32_e32 v16, vcc, s33, v16
	v_addc_co_u32_e32 v17, vcc, v19, v17, vcc
	global_store_short v[16:17], v18, off
	s_or_b64 exec, exec, s[30:31]
	s_and_b64 vcc, exec, s[12:13]
	s_cbranch_vccnz .LBB7_10
.LBB7_36:                               ;   in Loop: Header=BB7_11 Depth=1
	s_and_saveexec_b64 s[12:13], s[2:3]
	s_cbranch_execnz .LBB7_40
; %bb.37:                               ;   in Loop: Header=BB7_11 Depth=1
	s_or_b64 exec, exec, s[12:13]
	s_and_saveexec_b64 s[2:3], s[6:7]
	s_cbranch_execnz .LBB7_41
.LBB7_38:                               ;   in Loop: Header=BB7_11 Depth=1
	s_or_b64 exec, exec, s[2:3]
	s_and_saveexec_b64 s[2:3], s[8:9]
	s_cbranch_execnz .LBB7_42
.LBB7_39:                               ;   in Loop: Header=BB7_11 Depth=1
	s_or_b64 exec, exec, s[2:3]
	s_and_saveexec_b64 s[2:3], s[10:11]
	s_cbranch_execz .LBB7_9
	s_branch .LBB7_43
.LBB7_40:                               ;   in Loop: Header=BB7_11 Depth=1
	v_lshlrev_b64 v[16:17], 1, v[1:2]
	v_mov_b32_e32 v1, s36
	v_add_co_u32_e32 v16, vcc, s34, v16
	v_addc_co_u32_e32 v17, vcc, v1, v17, vcc
	global_store_short v[16:17], v10, off
	s_or_b64 exec, exec, s[12:13]
	s_and_saveexec_b64 s[2:3], s[6:7]
	s_cbranch_execz .LBB7_38
.LBB7_41:                               ;   in Loop: Header=BB7_11 Depth=1
	v_lshlrev_b64 v[3:4], 1, v[3:4]
	v_mov_b32_e32 v1, s36
	v_add_co_u32_e32 v3, vcc, s34, v3
	v_addc_co_u32_e32 v4, vcc, v1, v4, vcc
	global_store_short v[3:4], v14, off
	s_or_b64 exec, exec, s[2:3]
	s_and_saveexec_b64 s[2:3], s[8:9]
	s_cbranch_execz .LBB7_39
.LBB7_42:                               ;   in Loop: Header=BB7_11 Depth=1
	v_lshlrev_b64 v[3:4], 1, v[5:6]
	v_mov_b32_e32 v1, s36
	v_add_co_u32_e32 v3, vcc, s34, v3
	v_addc_co_u32_e32 v4, vcc, v1, v4, vcc
	global_store_short v[3:4], v11, off
	s_or_b64 exec, exec, s[2:3]
	s_and_saveexec_b64 s[2:3], s[10:11]
	s_cbranch_execz .LBB7_9
.LBB7_43:                               ;   in Loop: Header=BB7_11 Depth=1
	v_lshlrev_b64 v[3:4], 1, v[7:8]
	v_mov_b32_e32 v1, s36
	v_add_co_u32_e32 v3, vcc, s34, v3
	v_addc_co_u32_e32 v4, vcc, v1, v4, vcc
	global_store_short v[3:4], v15, off
	s_branch .LBB7_9
.LBB7_44:
	s_mov_b64 s[0:1], 0
.LBB7_45:
	s_andn2_b64 vcc, exec, s[0:1]
	s_cbranch_vccnz .LBB7_59
; %bb.46:
	v_mov_b32_e32 v3, 0
	v_lshlrev_b32_e32 v2, 2, v0
	v_cmp_gt_i64_e32 vcc, s[18:19], v[2:3]
	s_and_saveexec_b64 s[0:1], vcc
	s_cbranch_execz .LBB7_59
; %bb.47:
	s_load_dword s4, s[4:5], 0xc9c
	s_cmp_lg_u64 s[16:17], 0
	s_cselect_b64 s[2:3], -1, 0
	v_cndmask_b32_e64 v4, 0, 1, s[2:3]
	v_cmp_ne_u32_e64 s[2:3], 1, v4
	s_waitcnt lgkmcnt(0)
	s_and_b32 s8, s4, 0xffff
	v_add_lshl_u32 v2, v0, s8, 2
	v_mov_b32_e32 v5, v3
	v_mov_b32_e32 v1, v3
	s_mov_b64 s[6:7], 0
	v_cmp_neq_f32_e64 s[0:1], 0, v13
	v_add_u32_e32 v14, s8, v0
	s_lshl_b32 s9, s8, 2
	v_mov_b32_e32 v15, s35
	v_mov_b32_e32 v16, s36
	s_movk_i32 s10, 0x7fff
	s_movk_i32 s11, 0x3fff
	v_mov_b32_e32 v17, 0x7fc0
	v_mov_b32_e32 v18, 0x7fc00000
	;; [unrolled: 1-line block ×4, first 2 shown]
	s_branch .LBB7_49
.LBB7_48:                               ;   in Loop: Header=BB7_49 Depth=1
	v_cmp_le_u64_e32 vcc, s[18:19], v[4:5]
	v_cmp_lt_u32_e64 s[4:5], s11, v14
	v_add_u32_e32 v2, s8, v2
	s_or_b64 s[4:5], vcc, s[4:5]
	v_add_co_u32_e32 v4, vcc, s9, v4
	s_and_b64 s[4:5], exec, s[4:5]
	v_mov_b32_e32 v0, v2
	v_add_u32_e32 v14, s8, v14
	v_addc_co_u32_e32 v5, vcc, 0, v5, vcc
	s_or_b64 s[6:7], s[4:5], s[6:7]
	v_mov_b32_e32 v1, v3
	s_andn2_b64 exec, exec, s[6:7]
	s_cbranch_execz .LBB7_59
.LBB7_49:                               ; =>This Inner Loop Header: Depth=1
	v_lshlrev_b64 v[6:7], 3, v[0:1]
	v_add_co_u32_e32 v0, vcc, s33, v6
	v_addc_co_u32_e32 v1, vcc, v15, v7, vcc
	v_add_co_u32_e32 v6, vcc, s34, v6
	v_addc_co_u32_e32 v7, vcc, v16, v7, vcc
	global_load_dwordx2 v[8:9], v[6:7], off
	global_load_dwordx2 v[10:11], v[0:1], off
	s_and_b64 vcc, exec, s[2:3]
	s_waitcnt vmcnt(1)
	v_lshlrev_b32_e32 v19, 16, v8
	s_cbranch_vccnz .LBB7_51
; %bb.50:                               ;   in Loop: Header=BB7_49 Depth=1
	global_load_dword v20, v3, s[16:17]
	v_and_b32_e32 v8, 0xffff0000, v8
	s_waitcnt vmcnt(0)
	v_div_scale_f32 v21, s[4:5], v20, v20, v19
	v_div_scale_f32 v22, vcc, v19, v20, v19
	v_rcp_f32_e32 v23, v21
	v_fma_f32 v24, -v21, v23, 1.0
	v_fmac_f32_e32 v23, v24, v23
	v_mul_f32_e32 v24, v22, v23
	v_fma_f32 v25, -v21, v24, v22
	v_fmac_f32_e32 v24, v25, v23
	v_fma_f32 v21, -v21, v24, v22
	v_div_fmas_f32 v21, v21, v23, v24
	v_div_fixup_f32 v19, v21, v20, v19
	v_bfe_u32 v20, v19, 16, 1
	v_cmp_o_f32_e32 vcc, v19, v19
	v_add3_u32 v20, v19, v20, s10
	v_cndmask_b32_sdwa v20, v17, v20, vcc dst_sel:DWORD dst_unused:UNUSED_PAD src0_sel:DWORD src1_sel:WORD_1
	v_or_b32_e32 v8, v20, v8
.LBB7_51:                               ;   in Loop: Header=BB7_49 Depth=1
	s_and_b64 vcc, exec, s[2:3]
	v_and_b32_e32 v20, 0xffff0000, v8
	s_cbranch_vccnz .LBB7_53
; %bb.52:                               ;   in Loop: Header=BB7_49 Depth=1
	global_load_dword v21, v3, s[16:17]
	s_waitcnt vmcnt(0)
	v_div_scale_f32 v22, s[4:5], v21, v21, v20
	v_div_scale_f32 v23, vcc, v20, v21, v20
	v_rcp_f32_e32 v24, v22
	v_fma_f32 v25, -v22, v24, 1.0
	v_fmac_f32_e32 v24, v25, v24
	v_mul_f32_e32 v25, v23, v24
	v_fma_f32 v26, -v22, v25, v23
	v_fmac_f32_e32 v25, v26, v24
	v_fma_f32 v22, -v22, v25, v23
	v_div_fmas_f32 v22, v22, v24, v25
	v_div_fixup_f32 v20, v22, v21, v20
	v_bfe_u32 v21, v20, 16, 1
	v_add3_u32 v21, v20, v21, s10
	v_and_b32_e32 v21, 0xffff0000, v21
	v_cmp_o_f32_e32 vcc, v20, v20
	v_cndmask_b32_e32 v21, v18, v21, vcc
	v_or_b32_sdwa v8, v21, v8 dst_sel:DWORD dst_unused:UNUSED_PAD src0_sel:DWORD src1_sel:WORD_0
.LBB7_53:                               ;   in Loop: Header=BB7_49 Depth=1
	v_alignbit_b32 v21, v9, v8, 16
	s_and_b64 vcc, exec, s[2:3]
	v_and_b32_e32 v21, 0xffff0000, v21
	s_cbranch_vccnz .LBB7_55
; %bb.54:                               ;   in Loop: Header=BB7_49 Depth=1
	global_load_dword v22, v3, s[16:17]
	v_and_b32_e32 v9, 0xffff0000, v9
	s_waitcnt vmcnt(0)
	v_div_scale_f32 v23, s[4:5], v22, v22, v21
	v_div_scale_f32 v24, vcc, v21, v22, v21
	v_rcp_f32_e32 v25, v23
	v_fma_f32 v26, -v23, v25, 1.0
	v_fmac_f32_e32 v25, v26, v25
	v_mul_f32_e32 v26, v24, v25
	v_fma_f32 v27, -v23, v26, v24
	v_fmac_f32_e32 v26, v27, v25
	v_fma_f32 v23, -v23, v26, v24
	v_div_fmas_f32 v23, v23, v25, v26
	v_div_fixup_f32 v21, v23, v22, v21
	v_bfe_u32 v22, v21, 16, 1
	v_cmp_o_f32_e32 vcc, v21, v21
	v_add3_u32 v22, v21, v22, s10
	v_cndmask_b32_sdwa v22, v17, v22, vcc dst_sel:DWORD dst_unused:UNUSED_PAD src0_sel:DWORD src1_sel:WORD_1
	v_or_b32_e32 v9, v22, v9
.LBB7_55:                               ;   in Loop: Header=BB7_49 Depth=1
	s_and_b64 vcc, exec, s[2:3]
	v_and_b32_e32 v22, 0xffff0000, v9
	s_cbranch_vccnz .LBB7_57
; %bb.56:                               ;   in Loop: Header=BB7_49 Depth=1
	global_load_dword v23, v3, s[16:17]
	s_waitcnt vmcnt(0)
	v_div_scale_f32 v24, s[4:5], v23, v23, v22
	v_div_scale_f32 v25, vcc, v22, v23, v22
	v_rcp_f32_e32 v26, v24
	v_fma_f32 v27, -v24, v26, 1.0
	v_fmac_f32_e32 v26, v27, v26
	v_mul_f32_e32 v27, v25, v26
	v_fma_f32 v28, -v24, v27, v25
	v_fmac_f32_e32 v27, v28, v26
	v_fma_f32 v24, -v24, v27, v25
	v_div_fmas_f32 v24, v24, v26, v27
	v_div_fixup_f32 v22, v24, v23, v22
	v_bfe_u32 v23, v22, 16, 1
	v_add3_u32 v23, v22, v23, s10
	v_and_b32_e32 v23, 0xffff0000, v23
	v_cmp_o_f32_e32 vcc, v22, v22
	v_cndmask_b32_e32 v23, v18, v23, vcc
	v_or_b32_sdwa v9, v23, v9 dst_sel:DWORD dst_unused:UNUSED_PAD src0_sel:DWORD src1_sel:WORD_0
.LBB7_57:                               ;   in Loop: Header=BB7_49 Depth=1
	s_waitcnt vmcnt(0)
	v_lshlrev_b32_e32 v23, 16, v10
	v_cndmask_b32_e64 v19, v19, -v19, s[14:15]
	v_fma_f32 v24, v13, v23, v19
	v_cndmask_b32_e64 v19, v19, v24, s[0:1]
	v_fma_f32 v19, -v12, v19, v23
	v_bfe_u32 v23, v19, 16, 1
	v_add3_u32 v23, v19, v23, s10
	v_lshrrev_b32_e32 v23, 16, v23
	v_cmp_o_f32_e32 vcc, v19, v19
	v_cndmask_b32_e32 v19, v17, v23, vcc
	v_and_b32_e32 v23, 0xffff0000, v10
	v_cndmask_b32_e64 v20, v20, -v20, s[14:15]
	v_fma_f32 v24, v13, v23, v20
	v_cndmask_b32_e64 v20, v20, v24, s[0:1]
	v_fma_f32 v20, -v12, v20, v23
	v_bfe_u32 v23, v20, 16, 1
	v_add3_u32 v23, v20, v23, s10
	v_and_b32_e32 v23, 0xffff0000, v23
	v_cmp_o_f32_e32 vcc, v20, v20
	v_cndmask_b32_e32 v20, v18, v23, vcc
	v_alignbit_b32 v10, v11, v10, 16
	v_or_b32_e32 v19, v20, v19
	v_and_b32_e32 v10, 0xffff0000, v10
	v_cndmask_b32_e64 v20, v21, -v21, s[14:15]
	v_fma_f32 v21, v13, v10, v20
	v_cndmask_b32_e64 v20, v20, v21, s[0:1]
	v_fma_f32 v10, -v12, v20, v10
	v_bfe_u32 v20, v10, 16, 1
	v_add3_u32 v20, v10, v20, s10
	v_lshrrev_b32_e32 v20, 16, v20
	v_cmp_o_f32_e32 vcc, v10, v10
	v_cndmask_b32_e32 v10, v17, v20, vcc
	v_and_b32_e32 v11, 0xffff0000, v11
	v_cndmask_b32_e64 v20, v22, -v22, s[14:15]
	v_fma_f32 v21, v13, v11, v20
	v_cndmask_b32_e64 v20, v20, v21, s[0:1]
	v_fma_f32 v11, -v12, v20, v11
	v_bfe_u32 v20, v11, 16, 1
	v_add3_u32 v20, v11, v20, s10
	v_and_b32_e32 v20, 0xffff0000, v20
	v_cmp_o_f32_e32 vcc, v11, v11
	v_cndmask_b32_e32 v11, v18, v20, vcc
	v_or3_b32 v11, 0, v10, v11
	v_or3_b32 v10, v19, 0, 0
	s_and_b64 vcc, exec, s[2:3]
	global_store_dwordx2 v[0:1], v[10:11], off
	s_cbranch_vccnz .LBB7_48
; %bb.58:                               ;   in Loop: Header=BB7_49 Depth=1
	global_store_dwordx2 v[6:7], v[8:9], off
	s_branch .LBB7_48
.LBB7_59:
	s_endpgm
.LBB7_60:
                                        ; implicit-def: $sgpr1
	s_load_dword s0, s[6:7], 0x740
	v_mov_b32_e32 v12, s1
	s_branch .LBB7_5
	.section	.rodata,"a",@progbits
	.p2align	6, 0x0
	.amdhsa_kernel _ZN2at6native12_GLOBAL__N_125multi_tensor_apply_kernelINS1_18TensorListMetadataILi2EEENS1_19FusedSgdMathFunctorIN3c108BFloat16ELi2EEEJddPfddbbbS9_S9_EEEvT_T0_DpT1_
		.amdhsa_group_segment_fixed_size 0
		.amdhsa_private_segment_fixed_size 0
		.amdhsa_kernarg_size 3472
		.amdhsa_user_sgpr_count 6
		.amdhsa_user_sgpr_private_segment_buffer 1
		.amdhsa_user_sgpr_dispatch_ptr 0
		.amdhsa_user_sgpr_queue_ptr 0
		.amdhsa_user_sgpr_kernarg_segment_ptr 1
		.amdhsa_user_sgpr_dispatch_id 0
		.amdhsa_user_sgpr_flat_scratch_init 0
		.amdhsa_user_sgpr_private_segment_size 0
		.amdhsa_uses_dynamic_stack 0
		.amdhsa_system_sgpr_private_segment_wavefront_offset 0
		.amdhsa_system_sgpr_workgroup_id_x 1
		.amdhsa_system_sgpr_workgroup_id_y 0
		.amdhsa_system_sgpr_workgroup_id_z 0
		.amdhsa_system_sgpr_workgroup_info 0
		.amdhsa_system_vgpr_workitem_id 0
		.amdhsa_next_free_vgpr 29
		.amdhsa_next_free_sgpr 42
		.amdhsa_reserve_vcc 1
		.amdhsa_reserve_flat_scratch 0
		.amdhsa_float_round_mode_32 0
		.amdhsa_float_round_mode_16_64 0
		.amdhsa_float_denorm_mode_32 3
		.amdhsa_float_denorm_mode_16_64 3
		.amdhsa_dx10_clamp 1
		.amdhsa_ieee_mode 1
		.amdhsa_fp16_overflow 0
		.amdhsa_exception_fp_ieee_invalid_op 0
		.amdhsa_exception_fp_denorm_src 0
		.amdhsa_exception_fp_ieee_div_zero 0
		.amdhsa_exception_fp_ieee_overflow 0
		.amdhsa_exception_fp_ieee_underflow 0
		.amdhsa_exception_fp_ieee_inexact 0
		.amdhsa_exception_int_div_zero 0
	.end_amdhsa_kernel
	.section	.text._ZN2at6native12_GLOBAL__N_125multi_tensor_apply_kernelINS1_18TensorListMetadataILi2EEENS1_19FusedSgdMathFunctorIN3c108BFloat16ELi2EEEJddPfddbbbS9_S9_EEEvT_T0_DpT1_,"axG",@progbits,_ZN2at6native12_GLOBAL__N_125multi_tensor_apply_kernelINS1_18TensorListMetadataILi2EEENS1_19FusedSgdMathFunctorIN3c108BFloat16ELi2EEEJddPfddbbbS9_S9_EEEvT_T0_DpT1_,comdat
.Lfunc_end7:
	.size	_ZN2at6native12_GLOBAL__N_125multi_tensor_apply_kernelINS1_18TensorListMetadataILi2EEENS1_19FusedSgdMathFunctorIN3c108BFloat16ELi2EEEJddPfddbbbS9_S9_EEEvT_T0_DpT1_, .Lfunc_end7-_ZN2at6native12_GLOBAL__N_125multi_tensor_apply_kernelINS1_18TensorListMetadataILi2EEENS1_19FusedSgdMathFunctorIN3c108BFloat16ELi2EEEJddPfddbbbS9_S9_EEEvT_T0_DpT1_
                                        ; -- End function
	.set _ZN2at6native12_GLOBAL__N_125multi_tensor_apply_kernelINS1_18TensorListMetadataILi2EEENS1_19FusedSgdMathFunctorIN3c108BFloat16ELi2EEEJddPfddbbbS9_S9_EEEvT_T0_DpT1_.num_vgpr, 29
	.set _ZN2at6native12_GLOBAL__N_125multi_tensor_apply_kernelINS1_18TensorListMetadataILi2EEENS1_19FusedSgdMathFunctorIN3c108BFloat16ELi2EEEJddPfddbbbS9_S9_EEEvT_T0_DpT1_.num_agpr, 0
	.set _ZN2at6native12_GLOBAL__N_125multi_tensor_apply_kernelINS1_18TensorListMetadataILi2EEENS1_19FusedSgdMathFunctorIN3c108BFloat16ELi2EEEJddPfddbbbS9_S9_EEEvT_T0_DpT1_.numbered_sgpr, 42
	.set _ZN2at6native12_GLOBAL__N_125multi_tensor_apply_kernelINS1_18TensorListMetadataILi2EEENS1_19FusedSgdMathFunctorIN3c108BFloat16ELi2EEEJddPfddbbbS9_S9_EEEvT_T0_DpT1_.num_named_barrier, 0
	.set _ZN2at6native12_GLOBAL__N_125multi_tensor_apply_kernelINS1_18TensorListMetadataILi2EEENS1_19FusedSgdMathFunctorIN3c108BFloat16ELi2EEEJddPfddbbbS9_S9_EEEvT_T0_DpT1_.private_seg_size, 0
	.set _ZN2at6native12_GLOBAL__N_125multi_tensor_apply_kernelINS1_18TensorListMetadataILi2EEENS1_19FusedSgdMathFunctorIN3c108BFloat16ELi2EEEJddPfddbbbS9_S9_EEEvT_T0_DpT1_.uses_vcc, 1
	.set _ZN2at6native12_GLOBAL__N_125multi_tensor_apply_kernelINS1_18TensorListMetadataILi2EEENS1_19FusedSgdMathFunctorIN3c108BFloat16ELi2EEEJddPfddbbbS9_S9_EEEvT_T0_DpT1_.uses_flat_scratch, 0
	.set _ZN2at6native12_GLOBAL__N_125multi_tensor_apply_kernelINS1_18TensorListMetadataILi2EEENS1_19FusedSgdMathFunctorIN3c108BFloat16ELi2EEEJddPfddbbbS9_S9_EEEvT_T0_DpT1_.has_dyn_sized_stack, 0
	.set _ZN2at6native12_GLOBAL__N_125multi_tensor_apply_kernelINS1_18TensorListMetadataILi2EEENS1_19FusedSgdMathFunctorIN3c108BFloat16ELi2EEEJddPfddbbbS9_S9_EEEvT_T0_DpT1_.has_recursion, 0
	.set _ZN2at6native12_GLOBAL__N_125multi_tensor_apply_kernelINS1_18TensorListMetadataILi2EEENS1_19FusedSgdMathFunctorIN3c108BFloat16ELi2EEEJddPfddbbbS9_S9_EEEvT_T0_DpT1_.has_indirect_call, 0
	.section	.AMDGPU.csdata,"",@progbits
; Kernel info:
; codeLenInByte = 3216
; TotalNumSgprs: 46
; NumVgprs: 29
; ScratchSize: 0
; MemoryBound: 0
; FloatMode: 240
; IeeeMode: 1
; LDSByteSize: 0 bytes/workgroup (compile time only)
; SGPRBlocks: 5
; VGPRBlocks: 7
; NumSGPRsForWavesPerEU: 46
; NumVGPRsForWavesPerEU: 29
; Occupancy: 8
; WaveLimiterHint : 0
; COMPUTE_PGM_RSRC2:SCRATCH_EN: 0
; COMPUTE_PGM_RSRC2:USER_SGPR: 6
; COMPUTE_PGM_RSRC2:TRAP_HANDLER: 0
; COMPUTE_PGM_RSRC2:TGID_X_EN: 1
; COMPUTE_PGM_RSRC2:TGID_Y_EN: 0
; COMPUTE_PGM_RSRC2:TGID_Z_EN: 0
; COMPUTE_PGM_RSRC2:TIDIG_COMP_CNT: 0
	.section	.AMDGPU.gpr_maximums,"",@progbits
	.set amdgpu.max_num_vgpr, 0
	.set amdgpu.max_num_agpr, 0
	.set amdgpu.max_num_sgpr, 0
	.section	.AMDGPU.csdata,"",@progbits
	.type	__hip_cuid_de72188efed61f46,@object ; @__hip_cuid_de72188efed61f46
	.section	.bss,"aw",@nobits
	.globl	__hip_cuid_de72188efed61f46
__hip_cuid_de72188efed61f46:
	.byte	0                               ; 0x0
	.size	__hip_cuid_de72188efed61f46, 1

	.ident	"AMD clang version 22.0.0git (https://github.com/RadeonOpenCompute/llvm-project roc-7.2.4 26084 f58b06dce1f9c15707c5f808fd002e18c2accf7e)"
	.section	".note.GNU-stack","",@progbits
	.addrsig
	.addrsig_sym __hip_cuid_de72188efed61f46
	.amdgpu_metadata
---
amdhsa.kernels:
  - .args:
      - .offset:         0
        .size:           3144
        .value_kind:     by_value
      - .offset:         3144
        .size:           1
        .value_kind:     by_value
      - .offset:         3152
        .size:           8
        .value_kind:     by_value
      - .offset:         3160
        .size:           8
        .value_kind:     by_value
      - .address_space:  global
        .offset:         3168
        .size:           8
        .value_kind:     global_buffer
      - .offset:         3176
        .size:           8
        .value_kind:     by_value
      - .offset:         3184
        .size:           8
        .value_kind:     by_value
      - .offset:         3192
        .size:           1
        .value_kind:     by_value
      - .offset:         3193
        .size:           1
        .value_kind:     by_value
      - .offset:         3194
        .size:           1
        .value_kind:     by_value
      - .address_space:  global
        .offset:         3200
        .size:           8
        .value_kind:     global_buffer
      - .address_space:  global
        .offset:         3208
        .size:           8
        .value_kind:     global_buffer
      - .offset:         3216
        .size:           4
        .value_kind:     hidden_block_count_x
      - .offset:         3220
        .size:           4
        .value_kind:     hidden_block_count_y
      - .offset:         3224
        .size:           4
        .value_kind:     hidden_block_count_z
      - .offset:         3228
        .size:           2
        .value_kind:     hidden_group_size_x
      - .offset:         3230
        .size:           2
        .value_kind:     hidden_group_size_y
      - .offset:         3232
        .size:           2
        .value_kind:     hidden_group_size_z
      - .offset:         3234
        .size:           2
        .value_kind:     hidden_remainder_x
      - .offset:         3236
        .size:           2
        .value_kind:     hidden_remainder_y
      - .offset:         3238
        .size:           2
        .value_kind:     hidden_remainder_z
      - .offset:         3256
        .size:           8
        .value_kind:     hidden_global_offset_x
      - .offset:         3264
        .size:           8
        .value_kind:     hidden_global_offset_y
      - .offset:         3272
        .size:           8
        .value_kind:     hidden_global_offset_z
      - .offset:         3280
        .size:           2
        .value_kind:     hidden_grid_dims
    .group_segment_fixed_size: 0
    .kernarg_segment_align: 8
    .kernarg_segment_size: 3472
    .language:       OpenCL C
    .language_version:
      - 2
      - 0
    .max_flat_workgroup_size: 512
    .name:           _ZN2at6native12_GLOBAL__N_125multi_tensor_apply_kernelINS1_18TensorListMetadataILi3EEENS1_19FusedSgdMathFunctorIdLi3EEEJddPfddbbbS7_S7_EEEvT_T0_DpT1_
    .private_segment_fixed_size: 0
    .sgpr_count:     53
    .sgpr_spill_count: 0
    .symbol:         _ZN2at6native12_GLOBAL__N_125multi_tensor_apply_kernelINS1_18TensorListMetadataILi3EEENS1_19FusedSgdMathFunctorIdLi3EEEJddPfddbbbS7_S7_EEEvT_T0_DpT1_.kd
    .uniform_work_group_size: 1
    .uses_dynamic_stack: false
    .vgpr_count:     69
    .vgpr_spill_count: 0
    .wavefront_size: 64
  - .args:
      - .offset:         0
        .size:           3144
        .value_kind:     by_value
      - .offset:         3144
        .size:           1
        .value_kind:     by_value
      - .offset:         3152
        .size:           8
        .value_kind:     by_value
      - .offset:         3160
        .size:           8
        .value_kind:     by_value
      - .address_space:  global
        .offset:         3168
        .size:           8
        .value_kind:     global_buffer
      - .offset:         3176
        .size:           8
        .value_kind:     by_value
      - .offset:         3184
        .size:           8
        .value_kind:     by_value
      - .offset:         3192
        .size:           1
        .value_kind:     by_value
      - .offset:         3193
        .size:           1
        .value_kind:     by_value
      - .offset:         3194
        .size:           1
        .value_kind:     by_value
      - .address_space:  global
        .offset:         3200
        .size:           8
        .value_kind:     global_buffer
      - .address_space:  global
        .offset:         3208
        .size:           8
        .value_kind:     global_buffer
      - .offset:         3216
        .size:           4
        .value_kind:     hidden_block_count_x
      - .offset:         3220
        .size:           4
        .value_kind:     hidden_block_count_y
      - .offset:         3224
        .size:           4
        .value_kind:     hidden_block_count_z
      - .offset:         3228
        .size:           2
        .value_kind:     hidden_group_size_x
      - .offset:         3230
        .size:           2
        .value_kind:     hidden_group_size_y
      - .offset:         3232
        .size:           2
        .value_kind:     hidden_group_size_z
      - .offset:         3234
        .size:           2
        .value_kind:     hidden_remainder_x
      - .offset:         3236
        .size:           2
        .value_kind:     hidden_remainder_y
      - .offset:         3238
        .size:           2
        .value_kind:     hidden_remainder_z
      - .offset:         3256
        .size:           8
        .value_kind:     hidden_global_offset_x
      - .offset:         3264
        .size:           8
        .value_kind:     hidden_global_offset_y
      - .offset:         3272
        .size:           8
        .value_kind:     hidden_global_offset_z
      - .offset:         3280
        .size:           2
        .value_kind:     hidden_grid_dims
    .group_segment_fixed_size: 0
    .kernarg_segment_align: 8
    .kernarg_segment_size: 3472
    .language:       OpenCL C
    .language_version:
      - 2
      - 0
    .max_flat_workgroup_size: 512
    .name:           _ZN2at6native12_GLOBAL__N_125multi_tensor_apply_kernelINS1_18TensorListMetadataILi3EEENS1_19FusedSgdMathFunctorIfLi3EEEJddPfddbbbS7_S7_EEEvT_T0_DpT1_
    .private_segment_fixed_size: 0
    .sgpr_count:     47
    .sgpr_spill_count: 0
    .symbol:         _ZN2at6native12_GLOBAL__N_125multi_tensor_apply_kernelINS1_18TensorListMetadataILi3EEENS1_19FusedSgdMathFunctorIfLi3EEEJddPfddbbbS7_S7_EEEvT_T0_DpT1_.kd
    .uniform_work_group_size: 1
    .uses_dynamic_stack: false
    .vgpr_count:     55
    .vgpr_spill_count: 0
    .wavefront_size: 64
  - .args:
      - .offset:         0
        .size:           3144
        .value_kind:     by_value
      - .offset:         3144
        .size:           1
        .value_kind:     by_value
      - .offset:         3152
        .size:           8
        .value_kind:     by_value
      - .offset:         3160
        .size:           8
        .value_kind:     by_value
      - .address_space:  global
        .offset:         3168
        .size:           8
        .value_kind:     global_buffer
      - .offset:         3176
        .size:           8
        .value_kind:     by_value
      - .offset:         3184
        .size:           8
        .value_kind:     by_value
      - .offset:         3192
        .size:           1
        .value_kind:     by_value
      - .offset:         3193
        .size:           1
        .value_kind:     by_value
      - .offset:         3194
        .size:           1
        .value_kind:     by_value
      - .address_space:  global
        .offset:         3200
        .size:           8
        .value_kind:     global_buffer
      - .address_space:  global
        .offset:         3208
        .size:           8
        .value_kind:     global_buffer
      - .offset:         3216
        .size:           4
        .value_kind:     hidden_block_count_x
      - .offset:         3220
        .size:           4
        .value_kind:     hidden_block_count_y
      - .offset:         3224
        .size:           4
        .value_kind:     hidden_block_count_z
      - .offset:         3228
        .size:           2
        .value_kind:     hidden_group_size_x
      - .offset:         3230
        .size:           2
        .value_kind:     hidden_group_size_y
      - .offset:         3232
        .size:           2
        .value_kind:     hidden_group_size_z
      - .offset:         3234
        .size:           2
        .value_kind:     hidden_remainder_x
      - .offset:         3236
        .size:           2
        .value_kind:     hidden_remainder_y
      - .offset:         3238
        .size:           2
        .value_kind:     hidden_remainder_z
      - .offset:         3256
        .size:           8
        .value_kind:     hidden_global_offset_x
      - .offset:         3264
        .size:           8
        .value_kind:     hidden_global_offset_y
      - .offset:         3272
        .size:           8
        .value_kind:     hidden_global_offset_z
      - .offset:         3280
        .size:           2
        .value_kind:     hidden_grid_dims
    .group_segment_fixed_size: 0
    .kernarg_segment_align: 8
    .kernarg_segment_size: 3472
    .language:       OpenCL C
    .language_version:
      - 2
      - 0
    .max_flat_workgroup_size: 512
    .name:           _ZN2at6native12_GLOBAL__N_125multi_tensor_apply_kernelINS1_18TensorListMetadataILi3EEENS1_19FusedSgdMathFunctorIN3c104HalfELi3EEEJddPfddbbbS9_S9_EEEvT_T0_DpT1_
    .private_segment_fixed_size: 0
    .sgpr_count:     48
    .sgpr_spill_count: 0
    .symbol:         _ZN2at6native12_GLOBAL__N_125multi_tensor_apply_kernelINS1_18TensorListMetadataILi3EEENS1_19FusedSgdMathFunctorIN3c104HalfELi3EEEJddPfddbbbS9_S9_EEEvT_T0_DpT1_.kd
    .uniform_work_group_size: 1
    .uses_dynamic_stack: false
    .vgpr_count:     56
    .vgpr_spill_count: 0
    .wavefront_size: 64
  - .args:
      - .offset:         0
        .size:           3144
        .value_kind:     by_value
      - .offset:         3144
        .size:           1
        .value_kind:     by_value
      - .offset:         3152
        .size:           8
        .value_kind:     by_value
      - .offset:         3160
        .size:           8
        .value_kind:     by_value
      - .address_space:  global
        .offset:         3168
        .size:           8
        .value_kind:     global_buffer
      - .offset:         3176
        .size:           8
        .value_kind:     by_value
      - .offset:         3184
        .size:           8
        .value_kind:     by_value
      - .offset:         3192
        .size:           1
        .value_kind:     by_value
      - .offset:         3193
        .size:           1
        .value_kind:     by_value
      - .offset:         3194
        .size:           1
        .value_kind:     by_value
      - .address_space:  global
        .offset:         3200
        .size:           8
        .value_kind:     global_buffer
      - .address_space:  global
        .offset:         3208
        .size:           8
        .value_kind:     global_buffer
      - .offset:         3216
        .size:           4
        .value_kind:     hidden_block_count_x
      - .offset:         3220
        .size:           4
        .value_kind:     hidden_block_count_y
      - .offset:         3224
        .size:           4
        .value_kind:     hidden_block_count_z
      - .offset:         3228
        .size:           2
        .value_kind:     hidden_group_size_x
      - .offset:         3230
        .size:           2
        .value_kind:     hidden_group_size_y
      - .offset:         3232
        .size:           2
        .value_kind:     hidden_group_size_z
      - .offset:         3234
        .size:           2
        .value_kind:     hidden_remainder_x
      - .offset:         3236
        .size:           2
        .value_kind:     hidden_remainder_y
      - .offset:         3238
        .size:           2
        .value_kind:     hidden_remainder_z
      - .offset:         3256
        .size:           8
        .value_kind:     hidden_global_offset_x
      - .offset:         3264
        .size:           8
        .value_kind:     hidden_global_offset_y
      - .offset:         3272
        .size:           8
        .value_kind:     hidden_global_offset_z
      - .offset:         3280
        .size:           2
        .value_kind:     hidden_grid_dims
    .group_segment_fixed_size: 0
    .kernarg_segment_align: 8
    .kernarg_segment_size: 3472
    .language:       OpenCL C
    .language_version:
      - 2
      - 0
    .max_flat_workgroup_size: 512
    .name:           _ZN2at6native12_GLOBAL__N_125multi_tensor_apply_kernelINS1_18TensorListMetadataILi3EEENS1_19FusedSgdMathFunctorIN3c108BFloat16ELi3EEEJddPfddbbbS9_S9_EEEvT_T0_DpT1_
    .private_segment_fixed_size: 0
    .sgpr_count:     50
    .sgpr_spill_count: 0
    .symbol:         _ZN2at6native12_GLOBAL__N_125multi_tensor_apply_kernelINS1_18TensorListMetadataILi3EEENS1_19FusedSgdMathFunctorIN3c108BFloat16ELi3EEEJddPfddbbbS9_S9_EEEvT_T0_DpT1_.kd
    .uniform_work_group_size: 1
    .uses_dynamic_stack: false
    .vgpr_count:     53
    .vgpr_spill_count: 0
    .wavefront_size: 64
  - .args:
      - .offset:         0
        .size:           3144
        .value_kind:     by_value
      - .offset:         3144
        .size:           1
        .value_kind:     by_value
      - .offset:         3152
        .size:           8
        .value_kind:     by_value
      - .offset:         3160
        .size:           8
        .value_kind:     by_value
      - .address_space:  global
        .offset:         3168
        .size:           8
        .value_kind:     global_buffer
      - .offset:         3176
        .size:           8
        .value_kind:     by_value
      - .offset:         3184
        .size:           8
        .value_kind:     by_value
      - .offset:         3192
        .size:           1
        .value_kind:     by_value
      - .offset:         3193
        .size:           1
        .value_kind:     by_value
      - .offset:         3194
        .size:           1
        .value_kind:     by_value
      - .address_space:  global
        .offset:         3200
        .size:           8
        .value_kind:     global_buffer
      - .address_space:  global
        .offset:         3208
        .size:           8
        .value_kind:     global_buffer
      - .offset:         3216
        .size:           4
        .value_kind:     hidden_block_count_x
      - .offset:         3220
        .size:           4
        .value_kind:     hidden_block_count_y
      - .offset:         3224
        .size:           4
        .value_kind:     hidden_block_count_z
      - .offset:         3228
        .size:           2
        .value_kind:     hidden_group_size_x
      - .offset:         3230
        .size:           2
        .value_kind:     hidden_group_size_y
      - .offset:         3232
        .size:           2
        .value_kind:     hidden_group_size_z
      - .offset:         3234
        .size:           2
        .value_kind:     hidden_remainder_x
      - .offset:         3236
        .size:           2
        .value_kind:     hidden_remainder_y
      - .offset:         3238
        .size:           2
        .value_kind:     hidden_remainder_z
      - .offset:         3256
        .size:           8
        .value_kind:     hidden_global_offset_x
      - .offset:         3264
        .size:           8
        .value_kind:     hidden_global_offset_y
      - .offset:         3272
        .size:           8
        .value_kind:     hidden_global_offset_z
      - .offset:         3280
        .size:           2
        .value_kind:     hidden_grid_dims
    .group_segment_fixed_size: 0
    .kernarg_segment_align: 8
    .kernarg_segment_size: 3472
    .language:       OpenCL C
    .language_version:
      - 2
      - 0
    .max_flat_workgroup_size: 512
    .name:           _ZN2at6native12_GLOBAL__N_125multi_tensor_apply_kernelINS1_18TensorListMetadataILi2EEENS1_19FusedSgdMathFunctorIdLi2EEEJddPfddbbbS7_S7_EEEvT_T0_DpT1_
    .private_segment_fixed_size: 0
    .sgpr_count:     43
    .sgpr_spill_count: 0
    .symbol:         _ZN2at6native12_GLOBAL__N_125multi_tensor_apply_kernelINS1_18TensorListMetadataILi2EEENS1_19FusedSgdMathFunctorIdLi2EEEJddPfddbbbS7_S7_EEEvT_T0_DpT1_.kd
    .uniform_work_group_size: 1
    .uses_dynamic_stack: false
    .vgpr_count:     51
    .vgpr_spill_count: 0
    .wavefront_size: 64
  - .args:
      - .offset:         0
        .size:           3144
        .value_kind:     by_value
      - .offset:         3144
        .size:           1
        .value_kind:     by_value
      - .offset:         3152
        .size:           8
        .value_kind:     by_value
      - .offset:         3160
        .size:           8
        .value_kind:     by_value
      - .address_space:  global
        .offset:         3168
        .size:           8
        .value_kind:     global_buffer
      - .offset:         3176
        .size:           8
        .value_kind:     by_value
      - .offset:         3184
        .size:           8
        .value_kind:     by_value
      - .offset:         3192
        .size:           1
        .value_kind:     by_value
      - .offset:         3193
        .size:           1
        .value_kind:     by_value
      - .offset:         3194
        .size:           1
        .value_kind:     by_value
      - .address_space:  global
        .offset:         3200
        .size:           8
        .value_kind:     global_buffer
      - .address_space:  global
        .offset:         3208
        .size:           8
        .value_kind:     global_buffer
      - .offset:         3216
        .size:           4
        .value_kind:     hidden_block_count_x
      - .offset:         3220
        .size:           4
        .value_kind:     hidden_block_count_y
      - .offset:         3224
        .size:           4
        .value_kind:     hidden_block_count_z
      - .offset:         3228
        .size:           2
        .value_kind:     hidden_group_size_x
      - .offset:         3230
        .size:           2
        .value_kind:     hidden_group_size_y
      - .offset:         3232
        .size:           2
        .value_kind:     hidden_group_size_z
      - .offset:         3234
        .size:           2
        .value_kind:     hidden_remainder_x
      - .offset:         3236
        .size:           2
        .value_kind:     hidden_remainder_y
      - .offset:         3238
        .size:           2
        .value_kind:     hidden_remainder_z
      - .offset:         3256
        .size:           8
        .value_kind:     hidden_global_offset_x
      - .offset:         3264
        .size:           8
        .value_kind:     hidden_global_offset_y
      - .offset:         3272
        .size:           8
        .value_kind:     hidden_global_offset_z
      - .offset:         3280
        .size:           2
        .value_kind:     hidden_grid_dims
    .group_segment_fixed_size: 0
    .kernarg_segment_align: 8
    .kernarg_segment_size: 3472
    .language:       OpenCL C
    .language_version:
      - 2
      - 0
    .max_flat_workgroup_size: 512
    .name:           _ZN2at6native12_GLOBAL__N_125multi_tensor_apply_kernelINS1_18TensorListMetadataILi2EEENS1_19FusedSgdMathFunctorIfLi2EEEJddPfddbbbS7_S7_EEEvT_T0_DpT1_
    .private_segment_fixed_size: 0
    .sgpr_count:     41
    .sgpr_spill_count: 0
    .symbol:         _ZN2at6native12_GLOBAL__N_125multi_tensor_apply_kernelINS1_18TensorListMetadataILi2EEENS1_19FusedSgdMathFunctorIfLi2EEEJddPfddbbbS7_S7_EEEvT_T0_DpT1_.kd
    .uniform_work_group_size: 1
    .uses_dynamic_stack: false
    .vgpr_count:     40
    .vgpr_spill_count: 0
    .wavefront_size: 64
  - .args:
      - .offset:         0
        .size:           3144
        .value_kind:     by_value
      - .offset:         3144
        .size:           1
        .value_kind:     by_value
      - .offset:         3152
        .size:           8
        .value_kind:     by_value
      - .offset:         3160
        .size:           8
        .value_kind:     by_value
      - .address_space:  global
        .offset:         3168
        .size:           8
        .value_kind:     global_buffer
      - .offset:         3176
        .size:           8
        .value_kind:     by_value
      - .offset:         3184
        .size:           8
        .value_kind:     by_value
      - .offset:         3192
        .size:           1
        .value_kind:     by_value
      - .offset:         3193
        .size:           1
        .value_kind:     by_value
      - .offset:         3194
        .size:           1
        .value_kind:     by_value
      - .address_space:  global
        .offset:         3200
        .size:           8
        .value_kind:     global_buffer
      - .address_space:  global
        .offset:         3208
        .size:           8
        .value_kind:     global_buffer
      - .offset:         3216
        .size:           4
        .value_kind:     hidden_block_count_x
      - .offset:         3220
        .size:           4
        .value_kind:     hidden_block_count_y
      - .offset:         3224
        .size:           4
        .value_kind:     hidden_block_count_z
      - .offset:         3228
        .size:           2
        .value_kind:     hidden_group_size_x
      - .offset:         3230
        .size:           2
        .value_kind:     hidden_group_size_y
      - .offset:         3232
        .size:           2
        .value_kind:     hidden_group_size_z
      - .offset:         3234
        .size:           2
        .value_kind:     hidden_remainder_x
      - .offset:         3236
        .size:           2
        .value_kind:     hidden_remainder_y
      - .offset:         3238
        .size:           2
        .value_kind:     hidden_remainder_z
      - .offset:         3256
        .size:           8
        .value_kind:     hidden_global_offset_x
      - .offset:         3264
        .size:           8
        .value_kind:     hidden_global_offset_y
      - .offset:         3272
        .size:           8
        .value_kind:     hidden_global_offset_z
      - .offset:         3280
        .size:           2
        .value_kind:     hidden_grid_dims
    .group_segment_fixed_size: 0
    .kernarg_segment_align: 8
    .kernarg_segment_size: 3472
    .language:       OpenCL C
    .language_version:
      - 2
      - 0
    .max_flat_workgroup_size: 512
    .name:           _ZN2at6native12_GLOBAL__N_125multi_tensor_apply_kernelINS1_18TensorListMetadataILi2EEENS1_19FusedSgdMathFunctorIN3c104HalfELi2EEEJddPfddbbbS9_S9_EEEvT_T0_DpT1_
    .private_segment_fixed_size: 0
    .sgpr_count:     42
    .sgpr_spill_count: 0
    .symbol:         _ZN2at6native12_GLOBAL__N_125multi_tensor_apply_kernelINS1_18TensorListMetadataILi2EEENS1_19FusedSgdMathFunctorIN3c104HalfELi2EEEJddPfddbbbS9_S9_EEEvT_T0_DpT1_.kd
    .uniform_work_group_size: 1
    .uses_dynamic_stack: false
    .vgpr_count:     41
    .vgpr_spill_count: 0
    .wavefront_size: 64
  - .args:
      - .offset:         0
        .size:           3144
        .value_kind:     by_value
      - .offset:         3144
        .size:           1
        .value_kind:     by_value
      - .offset:         3152
        .size:           8
        .value_kind:     by_value
      - .offset:         3160
        .size:           8
        .value_kind:     by_value
      - .address_space:  global
        .offset:         3168
        .size:           8
        .value_kind:     global_buffer
      - .offset:         3176
        .size:           8
        .value_kind:     by_value
      - .offset:         3184
        .size:           8
        .value_kind:     by_value
      - .offset:         3192
        .size:           1
        .value_kind:     by_value
      - .offset:         3193
        .size:           1
        .value_kind:     by_value
      - .offset:         3194
        .size:           1
        .value_kind:     by_value
      - .address_space:  global
        .offset:         3200
        .size:           8
        .value_kind:     global_buffer
      - .address_space:  global
        .offset:         3208
        .size:           8
        .value_kind:     global_buffer
      - .offset:         3216
        .size:           4
        .value_kind:     hidden_block_count_x
      - .offset:         3220
        .size:           4
        .value_kind:     hidden_block_count_y
      - .offset:         3224
        .size:           4
        .value_kind:     hidden_block_count_z
      - .offset:         3228
        .size:           2
        .value_kind:     hidden_group_size_x
      - .offset:         3230
        .size:           2
        .value_kind:     hidden_group_size_y
      - .offset:         3232
        .size:           2
        .value_kind:     hidden_group_size_z
      - .offset:         3234
        .size:           2
        .value_kind:     hidden_remainder_x
      - .offset:         3236
        .size:           2
        .value_kind:     hidden_remainder_y
      - .offset:         3238
        .size:           2
        .value_kind:     hidden_remainder_z
      - .offset:         3256
        .size:           8
        .value_kind:     hidden_global_offset_x
      - .offset:         3264
        .size:           8
        .value_kind:     hidden_global_offset_y
      - .offset:         3272
        .size:           8
        .value_kind:     hidden_global_offset_z
      - .offset:         3280
        .size:           2
        .value_kind:     hidden_grid_dims
    .group_segment_fixed_size: 0
    .kernarg_segment_align: 8
    .kernarg_segment_size: 3472
    .language:       OpenCL C
    .language_version:
      - 2
      - 0
    .max_flat_workgroup_size: 512
    .name:           _ZN2at6native12_GLOBAL__N_125multi_tensor_apply_kernelINS1_18TensorListMetadataILi2EEENS1_19FusedSgdMathFunctorIN3c108BFloat16ELi2EEEJddPfddbbbS9_S9_EEEvT_T0_DpT1_
    .private_segment_fixed_size: 0
    .sgpr_count:     46
    .sgpr_spill_count: 0
    .symbol:         _ZN2at6native12_GLOBAL__N_125multi_tensor_apply_kernelINS1_18TensorListMetadataILi2EEENS1_19FusedSgdMathFunctorIN3c108BFloat16ELi2EEEJddPfddbbbS9_S9_EEEvT_T0_DpT1_.kd
    .uniform_work_group_size: 1
    .uses_dynamic_stack: false
    .vgpr_count:     29
    .vgpr_spill_count: 0
    .wavefront_size: 64
amdhsa.target:   amdgcn-amd-amdhsa--gfx906
amdhsa.version:
  - 1
  - 2
...

	.end_amdgpu_metadata
